;; amdgpu-corpus repo=ROCm/rocFFT kind=compiled arch=gfx906 opt=O3
	.text
	.amdgcn_target "amdgcn-amd-amdhsa--gfx906"
	.amdhsa_code_object_version 6
	.protected	fft_rtc_fwd_len1870_factors_17_10_11_wgs_187_tpt_187_halfLds_half_ip_CI_sbrr_dirReg ; -- Begin function fft_rtc_fwd_len1870_factors_17_10_11_wgs_187_tpt_187_halfLds_half_ip_CI_sbrr_dirReg
	.globl	fft_rtc_fwd_len1870_factors_17_10_11_wgs_187_tpt_187_halfLds_half_ip_CI_sbrr_dirReg
	.p2align	8
	.type	fft_rtc_fwd_len1870_factors_17_10_11_wgs_187_tpt_187_halfLds_half_ip_CI_sbrr_dirReg,@function
fft_rtc_fwd_len1870_factors_17_10_11_wgs_187_tpt_187_halfLds_half_ip_CI_sbrr_dirReg: ; @fft_rtc_fwd_len1870_factors_17_10_11_wgs_187_tpt_187_halfLds_half_ip_CI_sbrr_dirReg
; %bb.0:
	s_load_dwordx2 s[2:3], s[4:5], 0x18
	s_load_dwordx4 s[8:11], s[4:5], 0x0
	s_load_dwordx2 s[14:15], s[4:5], 0x50
	v_mul_u32_u24_e32 v1, 0x15f, v0
	v_add_u32_sdwa v5, s6, v1 dst_sel:DWORD dst_unused:UNUSED_PAD src0_sel:DWORD src1_sel:WORD_1
	s_waitcnt lgkmcnt(0)
	s_load_dwordx2 s[12:13], s[2:3], 0x0
	v_cmp_lt_u64_e64 s[0:1], s[10:11], 2
	v_mov_b32_e32 v3, 0
	v_mov_b32_e32 v1, 0
	;; [unrolled: 1-line block ×3, first 2 shown]
	s_and_b64 vcc, exec, s[0:1]
	v_mov_b32_e32 v2, 0
	s_cbranch_vccnz .LBB0_8
; %bb.1:
	s_load_dwordx2 s[0:1], s[4:5], 0x10
	s_add_u32 s6, s2, 8
	s_addc_u32 s7, s3, 0
	v_mov_b32_e32 v1, 0
	v_mov_b32_e32 v2, 0
	s_waitcnt lgkmcnt(0)
	s_add_u32 s16, s0, 8
	s_addc_u32 s17, s1, 0
	s_mov_b64 s[18:19], 1
.LBB0_2:                                ; =>This Inner Loop Header: Depth=1
	s_load_dwordx2 s[20:21], s[16:17], 0x0
                                        ; implicit-def: $vgpr7_vgpr8
	s_waitcnt lgkmcnt(0)
	v_or_b32_e32 v4, s21, v6
	v_cmp_ne_u64_e32 vcc, 0, v[3:4]
	s_and_saveexec_b64 s[0:1], vcc
	s_xor_b64 s[22:23], exec, s[0:1]
	s_cbranch_execz .LBB0_4
; %bb.3:                                ;   in Loop: Header=BB0_2 Depth=1
	v_cvt_f32_u32_e32 v4, s20
	v_cvt_f32_u32_e32 v7, s21
	s_sub_u32 s0, 0, s20
	s_subb_u32 s1, 0, s21
	v_mac_f32_e32 v4, 0x4f800000, v7
	v_rcp_f32_e32 v4, v4
	v_mul_f32_e32 v4, 0x5f7ffffc, v4
	v_mul_f32_e32 v7, 0x2f800000, v4
	v_trunc_f32_e32 v7, v7
	v_mac_f32_e32 v4, 0xcf800000, v7
	v_cvt_u32_f32_e32 v7, v7
	v_cvt_u32_f32_e32 v4, v4
	v_mul_lo_u32 v8, s0, v7
	v_mul_hi_u32 v9, s0, v4
	v_mul_lo_u32 v11, s1, v4
	v_mul_lo_u32 v10, s0, v4
	v_add_u32_e32 v8, v9, v8
	v_add_u32_e32 v8, v8, v11
	v_mul_hi_u32 v9, v4, v10
	v_mul_lo_u32 v11, v4, v8
	v_mul_hi_u32 v13, v4, v8
	v_mul_hi_u32 v12, v7, v10
	v_mul_lo_u32 v10, v7, v10
	v_mul_hi_u32 v14, v7, v8
	v_add_co_u32_e32 v9, vcc, v9, v11
	v_addc_co_u32_e32 v11, vcc, 0, v13, vcc
	v_mul_lo_u32 v8, v7, v8
	v_add_co_u32_e32 v9, vcc, v9, v10
	v_addc_co_u32_e32 v9, vcc, v11, v12, vcc
	v_addc_co_u32_e32 v10, vcc, 0, v14, vcc
	v_add_co_u32_e32 v8, vcc, v9, v8
	v_addc_co_u32_e32 v9, vcc, 0, v10, vcc
	v_add_co_u32_e32 v4, vcc, v4, v8
	v_addc_co_u32_e32 v7, vcc, v7, v9, vcc
	v_mul_lo_u32 v8, s0, v7
	v_mul_hi_u32 v9, s0, v4
	v_mul_lo_u32 v10, s1, v4
	v_mul_lo_u32 v11, s0, v4
	v_add_u32_e32 v8, v9, v8
	v_add_u32_e32 v8, v8, v10
	v_mul_lo_u32 v12, v4, v8
	v_mul_hi_u32 v13, v4, v11
	v_mul_hi_u32 v14, v4, v8
	;; [unrolled: 1-line block ×3, first 2 shown]
	v_mul_lo_u32 v11, v7, v11
	v_mul_hi_u32 v9, v7, v8
	v_add_co_u32_e32 v12, vcc, v13, v12
	v_addc_co_u32_e32 v13, vcc, 0, v14, vcc
	v_mul_lo_u32 v8, v7, v8
	v_add_co_u32_e32 v11, vcc, v12, v11
	v_addc_co_u32_e32 v10, vcc, v13, v10, vcc
	v_addc_co_u32_e32 v9, vcc, 0, v9, vcc
	v_add_co_u32_e32 v8, vcc, v10, v8
	v_addc_co_u32_e32 v9, vcc, 0, v9, vcc
	v_add_co_u32_e32 v4, vcc, v4, v8
	v_addc_co_u32_e32 v9, vcc, v7, v9, vcc
	v_mad_u64_u32 v[7:8], s[0:1], v5, v9, 0
	v_mul_hi_u32 v10, v5, v4
	v_add_co_u32_e32 v11, vcc, v10, v7
	v_addc_co_u32_e32 v12, vcc, 0, v8, vcc
	v_mad_u64_u32 v[7:8], s[0:1], v6, v4, 0
	v_mad_u64_u32 v[9:10], s[0:1], v6, v9, 0
	v_add_co_u32_e32 v4, vcc, v11, v7
	v_addc_co_u32_e32 v4, vcc, v12, v8, vcc
	v_addc_co_u32_e32 v7, vcc, 0, v10, vcc
	v_add_co_u32_e32 v4, vcc, v4, v9
	v_addc_co_u32_e32 v9, vcc, 0, v7, vcc
	v_mul_lo_u32 v10, s21, v4
	v_mul_lo_u32 v11, s20, v9
	v_mad_u64_u32 v[7:8], s[0:1], s20, v4, 0
	v_add3_u32 v8, v8, v11, v10
	v_sub_u32_e32 v10, v6, v8
	v_mov_b32_e32 v11, s21
	v_sub_co_u32_e32 v7, vcc, v5, v7
	v_subb_co_u32_e64 v10, s[0:1], v10, v11, vcc
	v_subrev_co_u32_e64 v11, s[0:1], s20, v7
	v_subbrev_co_u32_e64 v10, s[0:1], 0, v10, s[0:1]
	v_cmp_le_u32_e64 s[0:1], s21, v10
	v_cndmask_b32_e64 v12, 0, -1, s[0:1]
	v_cmp_le_u32_e64 s[0:1], s20, v11
	v_cndmask_b32_e64 v11, 0, -1, s[0:1]
	v_cmp_eq_u32_e64 s[0:1], s21, v10
	v_cndmask_b32_e64 v10, v12, v11, s[0:1]
	v_add_co_u32_e64 v11, s[0:1], 2, v4
	v_addc_co_u32_e64 v12, s[0:1], 0, v9, s[0:1]
	v_add_co_u32_e64 v13, s[0:1], 1, v4
	v_addc_co_u32_e64 v14, s[0:1], 0, v9, s[0:1]
	v_subb_co_u32_e32 v8, vcc, v6, v8, vcc
	v_cmp_ne_u32_e64 s[0:1], 0, v10
	v_cmp_le_u32_e32 vcc, s21, v8
	v_cndmask_b32_e64 v10, v14, v12, s[0:1]
	v_cndmask_b32_e64 v12, 0, -1, vcc
	v_cmp_le_u32_e32 vcc, s20, v7
	v_cndmask_b32_e64 v7, 0, -1, vcc
	v_cmp_eq_u32_e32 vcc, s21, v8
	v_cndmask_b32_e32 v7, v12, v7, vcc
	v_cmp_ne_u32_e32 vcc, 0, v7
	v_cndmask_b32_e64 v7, v13, v11, s[0:1]
	v_cndmask_b32_e32 v8, v9, v10, vcc
	v_cndmask_b32_e32 v7, v4, v7, vcc
.LBB0_4:                                ;   in Loop: Header=BB0_2 Depth=1
	s_andn2_saveexec_b64 s[0:1], s[22:23]
	s_cbranch_execz .LBB0_6
; %bb.5:                                ;   in Loop: Header=BB0_2 Depth=1
	v_cvt_f32_u32_e32 v4, s20
	s_sub_i32 s22, 0, s20
	v_rcp_iflag_f32_e32 v4, v4
	v_mul_f32_e32 v4, 0x4f7ffffe, v4
	v_cvt_u32_f32_e32 v4, v4
	v_mul_lo_u32 v7, s22, v4
	v_mul_hi_u32 v7, v4, v7
	v_add_u32_e32 v4, v4, v7
	v_mul_hi_u32 v4, v5, v4
	v_mul_lo_u32 v7, v4, s20
	v_add_u32_e32 v8, 1, v4
	v_sub_u32_e32 v7, v5, v7
	v_subrev_u32_e32 v9, s20, v7
	v_cmp_le_u32_e32 vcc, s20, v7
	v_cndmask_b32_e32 v7, v7, v9, vcc
	v_cndmask_b32_e32 v4, v4, v8, vcc
	v_add_u32_e32 v8, 1, v4
	v_cmp_le_u32_e32 vcc, s20, v7
	v_cndmask_b32_e32 v7, v4, v8, vcc
	v_mov_b32_e32 v8, v3
.LBB0_6:                                ;   in Loop: Header=BB0_2 Depth=1
	s_or_b64 exec, exec, s[0:1]
	v_mul_lo_u32 v4, v8, s20
	v_mul_lo_u32 v11, v7, s21
	v_mad_u64_u32 v[9:10], s[0:1], v7, s20, 0
	s_load_dwordx2 s[0:1], s[6:7], 0x0
	s_add_u32 s18, s18, 1
	v_add3_u32 v4, v10, v11, v4
	v_sub_co_u32_e32 v5, vcc, v5, v9
	v_subb_co_u32_e32 v4, vcc, v6, v4, vcc
	s_waitcnt lgkmcnt(0)
	v_mul_lo_u32 v4, s0, v4
	v_mul_lo_u32 v6, s1, v5
	v_mad_u64_u32 v[1:2], s[0:1], s0, v5, v[1:2]
	s_addc_u32 s19, s19, 0
	s_add_u32 s6, s6, 8
	v_add3_u32 v2, v6, v2, v4
	v_mov_b32_e32 v4, s10
	v_mov_b32_e32 v5, s11
	s_addc_u32 s7, s7, 0
	v_cmp_ge_u64_e32 vcc, s[18:19], v[4:5]
	s_add_u32 s16, s16, 8
	s_addc_u32 s17, s17, 0
	s_cbranch_vccnz .LBB0_9
; %bb.7:                                ;   in Loop: Header=BB0_2 Depth=1
	v_mov_b32_e32 v5, v7
	v_mov_b32_e32 v6, v8
	s_branch .LBB0_2
.LBB0_8:
	v_mov_b32_e32 v8, v6
	v_mov_b32_e32 v7, v5
.LBB0_9:
	s_lshl_b64 s[0:1], s[10:11], 3
	s_add_u32 s0, s2, s0
	s_addc_u32 s1, s3, s1
	s_load_dwordx2 s[2:3], s[0:1], 0x0
	s_load_dwordx2 s[6:7], s[4:5], 0x20
	v_mov_b32_e32 v12, 0
	v_mov_b32_e32 v11, 0
                                        ; implicit-def: $vgpr13
                                        ; implicit-def: $vgpr14
                                        ; implicit-def: $vgpr15
                                        ; implicit-def: $vgpr16
                                        ; implicit-def: $vgpr17
                                        ; implicit-def: $vgpr18
                                        ; implicit-def: $vgpr9
                                        ; implicit-def: $vgpr19
                                        ; implicit-def: $vgpr10
                                        ; implicit-def: $vgpr20
                                        ; implicit-def: $vgpr29
                                        ; implicit-def: $vgpr21
                                        ; implicit-def: $vgpr37
                                        ; implicit-def: $vgpr22
                                        ; implicit-def: $vgpr36
                                        ; implicit-def: $vgpr23
                                        ; implicit-def: $vgpr35
                                        ; implicit-def: $vgpr24
                                        ; implicit-def: $vgpr34
                                        ; implicit-def: $vgpr25
                                        ; implicit-def: $vgpr33
                                        ; implicit-def: $vgpr26
                                        ; implicit-def: $vgpr32
                                        ; implicit-def: $vgpr27
                                        ; implicit-def: $vgpr31
                                        ; implicit-def: $vgpr28
                                        ; implicit-def: $vgpr30
	s_waitcnt lgkmcnt(0)
	v_mad_u64_u32 v[3:4], s[0:1], s2, v7, v[1:2]
	s_mov_b32 s0, 0x15e75bc
	v_mul_hi_u32 v1, v0, s0
	v_mul_lo_u32 v5, s2, v8
	v_mul_lo_u32 v6, s3, v7
	v_cmp_gt_u64_e32 vcc, s[6:7], v[7:8]
	v_mul_u32_u24_e32 v1, 0xbb, v1
	v_sub_u32_e32 v2, v0, v1
	v_add3_u32 v4, v6, v4, v5
	s_movk_i32 s0, 0x6e
	v_cmp_gt_u32_e64 s[0:1], s0, v2
	v_lshlrev_b64 v[0:1], 2, v[3:4]
	s_and_b64 s[2:3], vcc, s[0:1]
                                        ; implicit-def: $vgpr4
                                        ; implicit-def: $vgpr5
                                        ; implicit-def: $vgpr6
                                        ; implicit-def: $vgpr7
                                        ; implicit-def: $vgpr8
	s_and_saveexec_b64 s[4:5], s[2:3]
	s_cbranch_execz .LBB0_11
; %bb.10:
	v_mad_u64_u32 v[3:4], s[2:3], s12, v2, 0
	v_add_u32_e32 v8, 0x6e, v2
	v_mov_b32_e32 v7, s15
	v_mad_u64_u32 v[4:5], s[2:3], s13, v2, v[4:5]
	v_mad_u64_u32 v[5:6], s[2:3], s12, v8, 0
	v_add_co_u32_e64 v40, s[2:3], s14, v0
	v_addc_co_u32_e64 v41, s[2:3], v7, v1, s[2:3]
	v_mad_u64_u32 v[6:7], s[2:3], s13, v8, v[6:7]
	v_add_u32_e32 v9, 0xdc, v2
	v_mad_u64_u32 v[7:8], s[2:3], s12, v9, 0
	v_lshlrev_b64 v[3:4], 2, v[3:4]
	v_add_u32_e32 v32, 0x3de, v2
	v_add_co_u32_e64 v12, s[2:3], v40, v3
	v_addc_co_u32_e64 v13, s[2:3], v41, v4, s[2:3]
	v_lshlrev_b64 v[3:4], 2, v[5:6]
	v_mov_b32_e32 v5, v8
	v_mad_u64_u32 v[5:6], s[2:3], s13, v9, v[5:6]
	v_add_u32_e32 v6, 0x14a, v2
	v_mad_u64_u32 v[9:10], s[2:3], s12, v6, 0
	v_add_co_u32_e64 v14, s[2:3], v40, v3
	v_mov_b32_e32 v8, v5
	v_mov_b32_e32 v5, v10
	v_addc_co_u32_e64 v15, s[2:3], v41, v4, s[2:3]
	v_lshlrev_b64 v[3:4], 2, v[7:8]
	v_mad_u64_u32 v[5:6], s[2:3], s13, v6, v[5:6]
	v_add_u32_e32 v8, 0x1b8, v2
	v_mad_u64_u32 v[6:7], s[2:3], s12, v8, 0
	v_add_co_u32_e64 v16, s[2:3], v40, v3
	v_mov_b32_e32 v10, v5
	v_mov_b32_e32 v5, v7
	v_addc_co_u32_e64 v17, s[2:3], v41, v4, s[2:3]
	v_lshlrev_b64 v[3:4], 2, v[9:10]
	v_mad_u64_u32 v[7:8], s[2:3], s13, v8, v[5:6]
	v_add_u32_e32 v10, 0x226, v2
	v_mad_u64_u32 v[8:9], s[2:3], s12, v10, 0
	v_add_co_u32_e64 v18, s[2:3], v40, v3
	v_mov_b32_e32 v5, v9
	v_addc_co_u32_e64 v19, s[2:3], v41, v4, s[2:3]
	v_lshlrev_b64 v[3:4], 2, v[6:7]
	v_mad_u64_u32 v[5:6], s[2:3], s13, v10, v[5:6]
	v_add_u32_e32 v10, 0x294, v2
	v_mad_u64_u32 v[6:7], s[2:3], s12, v10, 0
	v_add_co_u32_e64 v20, s[2:3], v40, v3
	v_mov_b32_e32 v9, v5
	v_mov_b32_e32 v5, v7
	v_addc_co_u32_e64 v21, s[2:3], v41, v4, s[2:3]
	v_lshlrev_b64 v[3:4], 2, v[8:9]
	v_mad_u64_u32 v[7:8], s[2:3], s13, v10, v[5:6]
	v_add_u32_e32 v10, 0x302, v2
	v_mad_u64_u32 v[8:9], s[2:3], s12, v10, 0
	v_add_co_u32_e64 v22, s[2:3], v40, v3
	v_mov_b32_e32 v5, v9
	v_addc_co_u32_e64 v23, s[2:3], v41, v4, s[2:3]
	v_lshlrev_b64 v[3:4], 2, v[6:7]
	v_mad_u64_u32 v[5:6], s[2:3], s13, v10, v[5:6]
	v_add_co_u32_e64 v24, s[2:3], v40, v3
	v_mov_b32_e32 v9, v5
	v_add_u32_e32 v5, 0x370, v2
	v_addc_co_u32_e64 v25, s[2:3], v41, v4, s[2:3]
	v_mad_u64_u32 v[26:27], s[2:3], s12, v5, 0
	v_lshlrev_b64 v[3:4], 2, v[8:9]
	v_add_co_u32_e64 v28, s[2:3], v40, v3
	v_mov_b32_e32 v3, v27
	v_addc_co_u32_e64 v29, s[2:3], v41, v4, s[2:3]
	v_mad_u64_u32 v[3:4], s[2:3], s13, v5, v[3:4]
	global_load_dword v11, v[12:13], off
	global_load_dword v4, v[14:15], off
	;; [unrolled: 1-line block ×8, first 2 shown]
	v_mad_u64_u32 v[30:31], s[2:3], s12, v32, 0
	v_mov_b32_e32 v27, v3
	v_add_u32_e32 v19, 0x44c, v2
	v_mov_b32_e32 v3, v31
	v_lshlrev_b64 v[12:13], 2, v[26:27]
	v_add_u32_e32 v22, 0x4ba, v2
	s_waitcnt vmcnt(6)
	v_mad_u64_u32 v[14:15], s[2:3], s13, v32, v[3:4]
	v_mad_u64_u32 v[15:16], s[2:3], s12, v19, 0
	v_add_co_u32_e64 v12, s[2:3], v40, v12
	v_mov_b32_e32 v3, v16
	v_addc_co_u32_e64 v13, s[2:3], v41, v13, s[2:3]
	v_mad_u64_u32 v[19:20], s[2:3], s13, v19, v[3:4]
	v_mad_u64_u32 v[20:21], s[2:3], s12, v22, 0
	v_mov_b32_e32 v31, v14
	v_lshlrev_b64 v[17:18], 2, v[30:31]
	v_mov_b32_e32 v16, v19
	v_add_co_u32_e64 v17, s[2:3], v40, v17
	v_mov_b32_e32 v3, v21
	v_addc_co_u32_e64 v18, s[2:3], v41, v18, s[2:3]
	v_lshlrev_b64 v[14:15], 2, v[15:16]
	v_mad_u64_u32 v[21:22], s[2:3], s13, v22, v[3:4]
	v_add_u32_e32 v16, 0x528, v2
	v_mad_u64_u32 v[22:23], s[2:3], s12, v16, 0
	v_add_co_u32_e64 v14, s[2:3], v40, v14
	v_mov_b32_e32 v3, v23
	v_addc_co_u32_e64 v15, s[2:3], v41, v15, s[2:3]
	v_mad_u64_u32 v[23:24], s[2:3], s13, v16, v[3:4]
	v_add_u32_e32 v16, 0x596, v2
	v_mad_u64_u32 v[24:25], s[2:3], s12, v16, 0
	v_lshlrev_b64 v[19:20], 2, v[20:21]
	v_lshlrev_b64 v[21:22], 2, v[22:23]
	v_add_co_u32_e64 v19, s[2:3], v40, v19
	v_mov_b32_e32 v3, v25
	v_addc_co_u32_e64 v20, s[2:3], v41, v20, s[2:3]
	v_mad_u64_u32 v[25:26], s[2:3], s13, v16, v[3:4]
	v_add_u32_e32 v16, 0x604, v2
	v_mad_u64_u32 v[26:27], s[2:3], s12, v16, 0
	v_add_co_u32_e64 v21, s[2:3], v40, v21
	v_mov_b32_e32 v3, v27
	v_addc_co_u32_e64 v22, s[2:3], v41, v22, s[2:3]
	v_mad_u64_u32 v[27:28], s[2:3], s13, v16, v[3:4]
	v_add_u32_e32 v16, 0x672, v2
	v_mad_u64_u32 v[28:29], s[2:3], s12, v16, 0
	v_lshlrev_b64 v[23:24], 2, v[24:25]
	v_lshlrev_b64 v[25:26], 2, v[26:27]
	v_add_co_u32_e64 v23, s[2:3], v40, v23
	v_mov_b32_e32 v3, v29
	v_addc_co_u32_e64 v24, s[2:3], v41, v24, s[2:3]
	v_mad_u64_u32 v[29:30], s[2:3], s13, v16, v[3:4]
	v_add_co_u32_e64 v25, s[2:3], v40, v25
	v_add_u32_e32 v16, 0x6e0, v2
	v_addc_co_u32_e64 v26, s[2:3], v41, v26, s[2:3]
	v_mad_u64_u32 v[37:38], s[2:3], s12, v16, 0
	v_lshlrev_b64 v[27:28], 2, v[28:29]
	v_add_co_u32_e64 v27, s[2:3], v40, v27
	v_mov_b32_e32 v3, v38
	v_addc_co_u32_e64 v28, s[2:3], v41, v28, s[2:3]
	v_mad_u64_u32 v[38:39], s[2:3], s13, v16, v[3:4]
	global_load_dword v29, v[12:13], off
	global_load_dword v30, v[17:18], off
	;; [unrolled: 1-line block ×8, first 2 shown]
	s_waitcnt vmcnt(13)
	v_lshrrev_b32_e32 v14, 16, v5
	v_lshlrev_b64 v[12:13], 2, v[37:38]
	s_waitcnt vmcnt(12)
	v_lshrrev_b32_e32 v15, 16, v6
	v_add_co_u32_e64 v12, s[2:3], v40, v12
	v_addc_co_u32_e64 v13, s[2:3], v41, v13, s[2:3]
	global_load_dword v37, v[12:13], off
	v_lshrrev_b32_e32 v12, 16, v11
	v_lshrrev_b32_e32 v13, 16, v4
	s_waitcnt vmcnt(12)
	v_lshrrev_b32_e32 v16, 16, v7
	s_waitcnt vmcnt(11)
	;; [unrolled: 2-line block ×13, first 2 shown]
	v_lshrrev_b32_e32 v21, 16, v37
.LBB0_11:
	s_or_b64 exec, exec, s[4:5]
	v_add_f16_e32 v54, v4, v37
	v_sub_f16_e32 v38, v13, v21
	v_mul_f16_e32 v46, 0xbacd, v54
	s_mov_b32 s5, 0xb836
	v_add_f16_e32 v55, v5, v36
	v_fma_f16 v3, v38, s5, v46
	s_movk_i32 s4, 0x3b29
	v_sub_f16_e32 v39, v14, v22
	v_mul_f16_e32 v47, 0x3722, v55
	v_add_f16_e32 v3, v11, v3
	v_fma_f16 v40, v39, s4, v47
	v_add_f16_e32 v56, v6, v35
	v_add_f16_e32 v3, v3, v40
	s_mov_b32 s2, 0xbbf7
	v_sub_f16_e32 v40, v15, v23
	v_mul_f16_e32 v48, 0x2de8, v56
	v_fma_f16 v41, v40, s2, v48
	v_add_f16_e32 v57, v7, v34
	v_add_f16_e32 v3, v3, v41
	s_movk_i32 s2, 0x3a62
	v_sub_f16_e32 v41, v16, v24
	v_mul_f16_e32 v49, 0xb8d2, v57
	v_fma_f16 v42, v41, s2, v49
	v_add_f16_e32 v58, v8, v33
	v_add_f16_e32 v3, v3, v42
	s_mov_b32 s2, 0xb5c8
	v_sub_f16_e32 v42, v17, v25
	v_mul_f16_e32 v50, 0x3b76, v58
	v_fma_f16 v43, v42, s2, v50
	v_add_f16_e32 v59, v9, v32
	v_add_f16_e32 v3, v3, v43
	s_mov_b32 s28, 0xb1e1
	v_sub_f16_e32 v43, v18, v26
	v_mul_f16_e32 v51, 0xbbdd, v59
	v_fma_f16 v44, v43, s28, v51
	v_add_f16_e32 v60, v10, v31
	v_add_f16_e32 v3, v3, v44
	s_movk_i32 s27, 0x3964
	v_sub_f16_e32 v44, v19, v27
	v_mul_f16_e32 v52, 0x39e9, v60
	v_fma_f16 v45, v44, s27, v52
	v_add_f16_e32 v61, v29, v30
	v_add_f16_e32 v3, v3, v45
	s_mov_b32 s25, 0xbbb2
	v_sub_f16_e32 v45, v20, v28
	v_mul_f16_e32 v53, 0xb461, v61
	v_fma_f16 v62, v45, s25, v53
	v_add_f16_e32 v3, v3, v62
	s_and_saveexec_b64 s[2:3], s[0:1]
	s_cbranch_execz .LBB0_13
; %bb.12:
	s_mov_b32 s19, 0x39e93b76
	v_pk_mul_f16 v73, v54, s19 op_sel_hi:[0,1]
	s_mov_b32 s19, 0xb964b5c8
	s_mov_b32 s20, 0x2de839e9
	v_pk_mul_f16 v74, v55, s20 op_sel_hi:[0,1]
	s_mov_b32 s20, 0xbbf7b964
	s_mov_b32 s21, 0xb8d23722
	v_pk_fma_f16 v62, v38, s19, v73 op_sel_hi:[0,1,1] neg_lo:[1,0,0] neg_hi:[1,0,0]
	v_pk_mul_f16 v75, v56, s21 op_sel_hi:[0,1]
	s_mov_b32 s21, 0xba62bb29
	s_mov_b32 s22, 0xbbdd2de8
	v_pk_add_f16 v62, v11, v62 op_sel_hi:[0,1]
	v_pk_fma_f16 v63, v39, s20, v74 op_sel_hi:[0,1,1] neg_lo:[1,0,0] neg_hi:[1,0,0]
	v_pk_mul_f16 v76, v57, s22 op_sel_hi:[0,1]
	s_mov_b32 s22, 0xb1e1bbf7
	s_mov_b32 s23, 0xbacdb461
	v_pk_add_f16 v62, v62, v63
	v_pk_fma_f16 v63, v40, s21, v75 op_sel_hi:[0,1,1] neg_lo:[1,0,0] neg_hi:[1,0,0]
	v_pk_mul_f16 v77, v58, s23 op_sel_hi:[0,1]
	s_mov_b32 s23, 0x3836bbb2
	s_mov_b32 s24, 0xb461b8d2
	v_pk_add_f16 v62, v62, v63
	;; [unrolled: 5-line block ×3, first 2 shown]
	v_pk_fma_f16 v63, v42, s23, v77 op_sel_hi:[0,1,1] neg_lo:[1,0,0] neg_hi:[1,0,0]
	s_mov_b32 s6, 0x2de83722
	v_pk_mul_f16 v79, v60, s26 op_sel_hi:[0,1]
	s_mov_b32 s26, 0x3b29b836
	v_pk_add_f16 v62, v62, v63
	v_pk_fma_f16 v63, v43, s24, v78 op_sel_hi:[0,1,1] neg_lo:[1,0,0] neg_hi:[1,0,0]
	v_pk_mul_f16 v66, v54, s6 op_sel_hi:[0,1]
	s_mov_b32 s6, 0xbbf7bb29
	s_mov_b32 s7, 0xbbddb8d2
	v_pk_add_f16 v62, v62, v63
	v_pk_fma_f16 v63, v44, s26, v79 op_sel_hi:[0,1,1] neg_lo:[1,0,0] neg_hi:[1,0,0]
	v_pk_mul_f16 v67, v55, s7 op_sel_hi:[0,1]
	s_mov_b32 s7, 0xb1e1ba62
	;; [unrolled: 5-line block ×3, first 2 shown]
	s_mov_b32 s11, 0x3b76b461
	v_pk_add_f16 v63, v11, v63 op_sel_hi:[0,1]
	v_pk_fma_f16 v64, v39, s7, v67 op_sel_hi:[0,1,1] neg_lo:[1,0,0] neg_hi:[1,0,0]
	v_pk_mul_f16 v69, v57, s11 op_sel_hi:[0,1]
	s_mov_b32 s11, 0x35c83bb2
	s_mov_b32 s16, 0x372239e9
	v_pk_add_f16 v63, v63, v64
	v_pk_fma_f16 v64, v40, s10, v68 op_sel_hi:[0,1,1] neg_lo:[1,0,0] neg_hi:[1,0,0]
	v_pk_mul_f16 v70, v58, s16 op_sel_hi:[0,1]
	s_mov_b32 s16, 0xbb293964
	s_mov_b32 s17, 0xbacd3b76
	v_pk_add_f16 v63, v63, v64
	;; [unrolled: 5-line block ×3, first 2 shown]
	v_pk_fma_f16 v64, v42, s16, v70 op_sel_hi:[0,1,1] neg_lo:[1,0,0] neg_hi:[1,0,0]
	v_pk_mul_f16 v72, v60, s18 op_sel_hi:[0,1]
	s_mov_b32 s18, 0x3a62bbf7
	v_pk_add_f16 v63, v63, v64
	v_pk_fma_f16 v64, v43, s17, v71 op_sel_hi:[0,1,1] neg_lo:[1,0,0] neg_hi:[1,0,0]
	s_mov_b32 s30, 0x3b76bbdd
	s_mov_b32 s29, 0x39e9bacd
	v_pk_add_f16 v63, v63, v64
	v_pk_fma_f16 v64, v44, s18, v72 op_sel_hi:[0,1,1] neg_lo:[1,0,0] neg_hi:[1,0,0]
	s_mov_b32 s31, 0x35c8b1e1
	v_pk_mul_f16 v81, v61, s30 op_sel_hi:[0,1]
	s_mov_b32 s30, 0xb8d2b461
	v_pk_add_f16 v63, v63, v64
	v_pk_mul_f16 v80, v61, s29 op_sel_hi:[0,1]
	s_mov_b32 s29, 0x3964b836
	v_pk_fma_f16 v64, v45, s31, v81 op_sel_hi:[0,1,1] neg_lo:[1,0,0] neg_hi:[1,0,0]
	s_mov_b32 s33, 0xba62bbb2
	s_mov_b32 s34, 0xb461bacd
	v_pk_mul_f16 v82, v54, s30 op_sel_hi:[0,1]
	v_pk_fma_f16 v65, v45, s29, v80 op_sel_hi:[0,1,1] neg_lo:[1,0,0] neg_hi:[1,0,0]
	v_pk_add_f16 v62, v62, v64
	s_mov_b32 s35, 0x3bb23836
	v_pk_fma_f16 v64, v38, s33, v82 op_sel_hi:[0,1,1] neg_lo:[1,0,0] neg_hi:[1,0,0]
	v_pk_mul_f16 v83, v55, s34 op_sel_hi:[0,1]
	s_mov_b32 s30, 0x3b7639e9
	v_pk_add_f16 v63, v63, v65
	v_pk_add_f16 v64, v11, v64 op_sel_hi:[0,1]
	v_pk_fma_f16 v65, v39, s35, v83 op_sel_hi:[0,1,1] neg_lo:[1,0,0] neg_hi:[1,0,0]
	s_mov_b32 s34, 0xb5c83964
	v_pk_mul_f16 v84, v56, s30 op_sel_hi:[0,1]
	s_mov_b32 s30, 0xbacd3722
	v_pk_add_f16 v64, v64, v65
	v_pk_fma_f16 v65, v40, s34, v84 op_sel_hi:[0,1,1] neg_lo:[1,0,0] neg_hi:[1,0,0]
	s_mov_b32 s36, 0xb836bb29
	v_pk_mul_f16 v85, v57, s30 op_sel_hi:[0,1]
	s_mov_b32 s30, 0x2de8bbdd
	v_pk_add_f16 v64, v64, v65
	;; [unrolled: 5-line block ×5, first 2 shown]
	v_pk_fma_f16 v65, v44, s39, v88 op_sel_hi:[0,1,1] neg_lo:[1,0,0] neg_hi:[1,0,0]
	s_mov_b32 s40, 0x3b29ba62
	v_pk_mul_f16 v89, v61, s30 op_sel_hi:[0,1]
	v_pk_add_f16 v64, v64, v65
	v_pk_fma_f16 v65, v45, s40, v89 op_sel_hi:[0,1,1] neg_lo:[1,0,0] neg_hi:[1,0,0]
	v_mul_f16_e32 v54, 0xbbdd, v54
	v_pk_add_f16 v64, v64, v65
	v_fma_f16 v65, v38, s28, v54
	v_mul_f16_e32 v55, 0x3b76, v55
	s_movk_i32 s28, 0x35c8
	v_add_f16_e32 v65, v11, v65
	v_fma_f16 v90, v39, s28, v55
	v_mul_f16_e32 v56, 0xbacd, v56
	v_add_f16_e32 v65, v65, v90
	v_fma_f16 v90, v40, s5, v56
	v_mul_f16_e32 v57, 0x39e9, v57
	;; [unrolled: 3-line block ×3, first 2 shown]
	s_mov_b32 s5, 0xba62
	v_add_f16_e32 v65, v65, v90
	v_fma_f16 v90, v42, s5, v58
	v_mul_f16_e32 v59, 0x3722, v59
	v_add_f16_e32 v65, v65, v90
	v_fma_f16 v90, v43, s4, v59
	v_mul_f16_e32 v60, 0xb461, v60
	v_add_f16_e32 v65, v65, v90
	v_fma_f16 v90, v44, s25, v60
	v_mul_f16_e32 v61, 0x2de8, v61
	s_movk_i32 s4, 0x3bf7
	v_add_f16_e32 v65, v65, v90
	v_fma_f16 v90, v45, s4, v61
	v_add_f16_e32 v90, v65, v90
	v_add_f16_e32 v65, v11, v4
	v_add_f16_e32 v65, v65, v5
	v_add_f16_e32 v65, v65, v6
	v_add_f16_e32 v65, v65, v7
	v_add_f16_e32 v65, v65, v8
	v_add_f16_e32 v65, v65, v9
	v_add_f16_e32 v65, v65, v10
	v_add_f16_e32 v65, v65, v29
	v_add_f16_e32 v65, v65, v30
	v_add_f16_e32 v65, v31, v65
	v_add_f16_e32 v65, v32, v65
	v_add_f16_e32 v65, v33, v65
	v_add_f16_e32 v65, v34, v65
	v_add_f16_e32 v65, v35, v65
	v_add_f16_e32 v65, v36, v65
	v_add_f16_e32 v65, v37, v65
	v_mad_u32_u24 v91, v2, 34, 0
	s_mov_b32 s4, 0x5040100
	ds_write_b16 v91, v65
	v_perm_b32 v46, v54, v46, s4
	v_mul_f16_e32 v54, 0xb836, v38
	v_mul_f16_e32 v65, 0xb1e1, v38
	v_perm_b32 v54, v65, v54, s4
	v_pk_add_f16 v46, v46, v54 neg_lo:[0,1] neg_hi:[0,1]
	v_perm_b32 v47, v55, v47, s4
	v_mul_f16_e32 v54, 0x3b29, v39
	v_mul_f16_e32 v55, 0x35c8, v39
	v_perm_b32 v54, v55, v54, s4
	v_pk_add_f16 v47, v47, v54 neg_lo:[0,1] neg_hi:[0,1]
	v_pk_add_f16 v46, v11, v46 op_sel_hi:[0,1]
	v_pk_add_f16 v46, v46, v47
	v_perm_b32 v47, v56, v48, s4
	v_mul_f16_e32 v48, 0xbbf7, v40
	v_mul_f16_e32 v54, 0xb836, v40
	v_perm_b32 v48, v54, v48, s4
	v_pk_add_f16 v47, v47, v48 neg_lo:[0,1] neg_hi:[0,1]
	v_pk_add_f16 v46, v46, v47
	v_perm_b32 v47, v57, v49, s4
	v_mul_f16_e32 v48, 0x3a62, v41
	v_mul_f16_e32 v49, 0x3964, v41
	v_perm_b32 v48, v49, v48, s4
	v_pk_add_f16 v47, v47, v48 neg_lo:[0,1] neg_hi:[0,1]
	v_mul_f16_e32 v48, 0xb5c8, v42
	v_mul_f16_e32 v49, 0xba62, v42
	v_pk_add_f16 v46, v46, v47
	v_perm_b32 v47, v58, v50, s4
	v_perm_b32 v48, v49, v48, s4
	v_pk_add_f16 v47, v47, v48 neg_lo:[0,1] neg_hi:[0,1]
	v_mul_f16_e32 v48, 0xb1e1, v43
	v_mul_f16_e32 v49, 0x3b29, v43
	v_pk_add_f16 v46, v46, v47
	v_perm_b32 v47, v59, v51, s4
	;; [unrolled: 6-line block ×4, first 2 shown]
	v_perm_b32 v48, v49, v48, s4
	v_pk_add_f16 v47, v47, v48 neg_lo:[0,1] neg_hi:[0,1]
	v_pk_add_f16 v65, v46, v47
	v_pk_fma_f16 v46, v38, s33, v82 op_sel_hi:[0,1,1]
	v_pk_add_f16 v46, v11, v46 op_sel_hi:[0,1]
	v_pk_fma_f16 v47, v39, s35, v83 op_sel_hi:[0,1,1]
	v_pk_add_f16 v46, v46, v47
	v_pk_fma_f16 v47, v40, s34, v84 op_sel_hi:[0,1,1]
	v_pk_add_f16 v46, v46, v47
	;; [unrolled: 2-line block ×7, first 2 shown]
	v_pk_fma_f16 v47, v38, s6, v66 op_sel_hi:[0,1,1]
	v_pk_fma_f16 v38, v38, s19, v73 op_sel_hi:[0,1,1]
	v_pk_add_f16 v47, v11, v47 op_sel_hi:[0,1]
	v_pk_fma_f16 v48, v39, s7, v67 op_sel_hi:[0,1,1]
	v_pk_add_f16 v11, v11, v38 op_sel_hi:[0,1]
	v_pk_fma_f16 v38, v39, s20, v74 op_sel_hi:[0,1,1]
	v_pk_add_f16 v47, v47, v48
	v_pk_fma_f16 v48, v40, s10, v68 op_sel_hi:[0,1,1]
	v_pk_add_f16 v11, v11, v38
	;; [unrolled: 2-line block ×13, first 2 shown]
	v_pk_add_f16 v11, v11, v38
	v_alignbit_b32 v41, v11, v11, 16
	v_alignbit_b32 v40, v47, v47, 16
	;; [unrolled: 1-line block ×3, first 2 shown]
	v_perm_b32 v38, v3, v90, s4
	ds_write_b128 v91, v[62:65] offset:2
	ds_write_b128 v91, v[38:41] offset:18
.LBB0_13:
	s_or_b64 exec, exec, s[2:3]
	v_sub_f16_e32 v56, v4, v37
	s_mov_b32 s2, 0xb1e1b836
	v_add_f16_e32 v41, v13, v21
	v_sub_f16_e32 v49, v5, v36
	v_sub_f16_e32 v52, v8, v33
	s_mov_b32 s4, 0xbbddbacd
	v_pk_mul_f16 v33, v56, s2 op_sel_hi:[0,1]
	s_mov_b32 s2, 0x35c83b29
	v_add_f16_e32 v42, v14, v22
	v_sub_f16_e32 v50, v6, v35
	v_sub_f16_e32 v51, v7, v34
	s_mov_b32 s5, 0x3b763722
	v_pk_mul_f16 v34, v49, s2 op_sel_hi:[0,1]
	s_mov_b32 s2, 0xb836bbf7
	v_pk_fma_f16 v4, v41, s4, v33 op_sel_hi:[0,1,1] neg_lo:[0,0,1] neg_hi:[0,0,1]
	v_add_f16_e32 v43, v15, v23
	s_mov_b32 s6, 0xbacd2de8
	v_pk_mul_f16 v35, v50, s2 op_sel_hi:[0,1]
	s_mov_b32 s2, 0x39643a62
	v_pk_add_f16 v4, v12, v4 op_sel_hi:[0,1]
	v_pk_fma_f16 v5, v42, s5, v34 op_sel_hi:[0,1,1] neg_lo:[0,0,1] neg_hi:[0,0,1]
	v_add_f16_e32 v44, v16, v24
	s_mov_b32 s7, 0x39e9b8d2
	v_pk_mul_f16 v36, v51, s2 op_sel_hi:[0,1]
	s_mov_b32 s2, 0xba62b5c8
	v_pk_add_f16 v4, v4, v5
	v_pk_fma_f16 v5, v43, s6, v35 op_sel_hi:[0,1,1] neg_lo:[0,0,1] neg_hi:[0,0,1]
	v_add_f16_e32 v45, v17, v25
	v_sub_f16_e32 v53, v9, v32
	s_mov_b32 s10, 0xb8d23b76
	v_pk_mul_f16 v37, v52, s2 op_sel_hi:[0,1]
	s_mov_b32 s2, 0x3b29b1e1
	v_pk_add_f16 v4, v4, v5
	v_pk_fma_f16 v5, v44, s7, v36 op_sel_hi:[0,1,1] neg_lo:[0,0,1] neg_hi:[0,0,1]
	v_add_f16_e32 v46, v18, v26
	v_sub_f16_e32 v54, v10, v31
	s_mov_b32 s11, 0x3722bbdd
	v_pk_mul_f16 v38, v53, s2 op_sel_hi:[0,1]
	s_mov_b32 s2, 0xbbb23964
	v_pk_add_f16 v4, v4, v5
	v_pk_fma_f16 v5, v45, s10, v37 op_sel_hi:[0,1,1] neg_lo:[0,0,1] neg_hi:[0,0,1]
	v_add_f16_e32 v47, v19, v27
	s_mov_b32 s16, 0xb46139e9
	v_pk_mul_f16 v39, v54, s2 op_sel_hi:[0,1]
	v_pk_add_f16 v4, v4, v5
	v_pk_fma_f16 v5, v46, s11, v38 op_sel_hi:[0,1,1] neg_lo:[0,0,1] neg_hi:[0,0,1]
	v_pk_add_f16 v4, v4, v5
	v_pk_fma_f16 v5, v47, s16, v39 op_sel_hi:[0,1,1] neg_lo:[0,0,1] neg_hi:[0,0,1]
	v_pk_add_f16 v4, v4, v5
	v_lshl_add_u32 v5, v2, 1, 0
	v_sub_f16_e32 v55, v29, v30
	s_waitcnt lgkmcnt(0)
	s_barrier
	ds_read_u16 v6, v5
	ds_read_u16 v32, v5 offset:374
	ds_read_u16 v31, v5 offset:748
	;; [unrolled: 1-line block ×9, first 2 shown]
	s_mov_b32 s2, 0x3bf7bbb2
	v_add_f16_e32 v48, v20, v28
	s_mov_b32 s17, 0x2de8b461
	v_pk_mul_f16 v40, v55, s2 op_sel_hi:[0,1]
	v_pk_fma_f16 v57, v48, s17, v40 op_sel_hi:[0,1,1] neg_lo:[0,0,1] neg_hi:[0,0,1]
	v_pk_add_f16 v4, v4, v57
	s_waitcnt lgkmcnt(0)
	s_barrier
	s_and_saveexec_b64 s[2:3], s[0:1]
	s_cbranch_execz .LBB0_15
; %bb.14:
	s_mov_b32 s0, 0x5040100
	v_perm_b32 v58, v12, v12, s0
	v_add_f16_e32 v12, v12, v13
	v_add_f16_e32 v12, v12, v14
	;; [unrolled: 1-line block ×13, first 2 shown]
	v_pack_b32_f16 v56, v56, v56
	v_add_f16_e32 v12, v23, v12
	s_mov_b32 s1, 0xb964b5c8
	v_pack_b32_f16 v57, v41, v41
	v_pack_b32_f16 v49, v49, v49
	v_pk_mul_f16 v41, v41, s4 op_sel_hi:[0,1]
	v_add_f16_e32 v12, v22, v12
	s_mov_b32 s0, 0x39e93b76
	v_pk_mul_f16 v13, v56, s1
	s_mov_b32 s4, 0xbbf7b964
	v_pack_b32_f16 v59, v42, v42
	v_add_f16_e32 v16, v21, v12
	v_pk_fma_f16 v12, v57, s0, v13
	s_mov_b32 s1, 0x2de839e9
	v_pk_mul_f16 v14, v49, s4
	v_pack_b32_f16 v50, v50, v50
	v_pk_mul_f16 v42, v42, s5 op_sel_hi:[0,1]
	v_pk_add_f16 v12, v58, v12
	v_pk_fma_f16 v15, v59, s1, v14
	s_mov_b32 s5, 0xba62bb29
	v_pack_b32_f16 v60, v43, v43
	v_pk_add_f16 v12, v12, v15
	s_mov_b32 s4, 0xb8d23722
	v_pk_mul_f16 v15, v50, s5
	v_pack_b32_f16 v51, v51, v51
	v_pk_mul_f16 v43, v43, s6 op_sel_hi:[0,1]
	v_pk_fma_f16 v17, v60, s4, v15
	s_mov_b32 s6, 0xb1e1bbf7
	v_pack_b32_f16 v61, v44, v44
	v_pk_add_f16 v12, v12, v17
	s_mov_b32 s5, 0xbbdd2de8
	v_pk_mul_f16 v17, v51, s6
	v_pack_b32_f16 v52, v52, v52
	v_pk_mul_f16 v44, v44, s7 op_sel_hi:[0,1]
	v_pk_fma_f16 v18, v61, s5, v17
	s_mov_b32 s7, 0x3836bbb2
	v_pack_b32_f16 v62, v45, v45
	v_pk_add_f16 v12, v12, v18
	s_mov_b32 s6, 0xbacdb461
	v_pk_mul_f16 v18, v52, s7
	v_pk_fma_f16 v13, v57, s0, v13 neg_lo:[0,0,1] neg_hi:[0,0,1]
	v_pack_b32_f16 v53, v53, v53
	v_pk_mul_f16 v45, v45, s10 op_sel_hi:[0,1]
	v_pk_fma_f16 v19, v62, s6, v18
	s_mov_b32 s10, 0x3bb2ba62
	v_pk_add_f16 v13, v58, v13
	v_pk_fma_f16 v14, v59, s1, v14 neg_lo:[0,0,1] neg_hi:[0,0,1]
	v_pack_b32_f16 v63, v46, v46
	v_pk_add_f16 v12, v12, v19
	s_mov_b32 s7, 0xb461b8d2
	v_pk_mul_f16 v19, v53, s10
	v_pk_add_f16 v13, v13, v14
	v_pk_fma_f16 v14, v60, s4, v15 neg_lo:[0,0,1] neg_hi:[0,0,1]
	v_pack_b32_f16 v54, v54, v54
	v_pk_mul_f16 v46, v46, s11 op_sel_hi:[0,1]
	v_pk_fma_f16 v20, v63, s7, v19
	s_mov_b32 s11, 0x3b29b836
	v_pk_add_f16 v13, v13, v14
	v_pk_fma_f16 v14, v61, s5, v17 neg_lo:[0,0,1] neg_hi:[0,0,1]
	v_pack_b32_f16 v64, v47, v47
	v_pk_add_f16 v12, v12, v20
	s_mov_b32 s10, 0x3722bacd
	v_pk_mul_f16 v20, v54, s11
	v_pk_add_f16 v13, v13, v14
	;; [unrolled: 12-line block ×3, first 2 shown]
	v_pk_fma_f16 v14, v64, s10, v20 neg_lo:[0,0,1] neg_hi:[0,0,1]
	v_pk_add_f16 v13, v13, v14
	v_pk_fma_f16 v14, v65, s11, v21 neg_lo:[0,0,1] neg_hi:[0,0,1]
	s_mov_b32 s1, 0xbbf7bb29
	v_pk_add_f16 v17, v13, v14
	s_mov_b32 s0, 0x2de83722
	v_pk_mul_f16 v14, v56, s1
	s_mov_b32 s4, 0xb1e1ba62
	v_pk_fma_f16 v13, v57, s0, v14
	s_mov_b32 s1, 0xbbddb8d2
	v_pk_mul_f16 v15, v49, s4
	v_pk_add_f16 v13, v58, v13
	v_pk_fma_f16 v18, v59, s1, v15
	s_mov_b32 s5, 0x3bb231e1
	v_pk_add_f16 v13, v13, v18
	s_mov_b32 s4, 0xb461bbdd
	v_pk_mul_f16 v18, v50, s5
	v_pk_fma_f16 v19, v60, s4, v18
	s_mov_b32 s6, 0x35c83bb2
	v_pk_add_f16 v13, v13, v19
	s_mov_b32 s5, 0x3b76b461
	v_pk_mul_f16 v19, v51, s6
	;; [unrolled: 5-line block ×3, first 2 shown]
	v_pk_fma_f16 v14, v57, s0, v14 neg_lo:[0,0,1] neg_hi:[0,0,1]
	v_pk_fma_f16 v22, v65, s11, v21
	v_pk_fma_f16 v21, v62, s6, v20
	s_mov_b32 s10, 0xb836b5c8
	v_pk_add_f16 v14, v58, v14
	v_pk_fma_f16 v15, v59, s1, v15 neg_lo:[0,0,1] neg_hi:[0,0,1]
	v_pk_add_f16 v13, v13, v21
	s_mov_b32 s7, 0xbacd3b76
	v_pk_mul_f16 v21, v53, s10
	v_pk_add_f16 v14, v14, v15
	v_pk_fma_f16 v15, v60, s4, v18 neg_lo:[0,0,1] neg_hi:[0,0,1]
	v_pk_add_f16 v12, v12, v22
	v_pk_fma_f16 v22, v63, s7, v21
	s_mov_b32 s11, 0x3a62bbf7
	v_pk_add_f16 v14, v14, v15
	v_pk_fma_f16 v15, v61, s5, v19 neg_lo:[0,0,1] neg_hi:[0,0,1]
	v_pk_add_f16 v13, v13, v22
	s_mov_b32 s10, 0xb8d22de8
	v_pk_mul_f16 v22, v54, s11
	v_pk_add_f16 v14, v14, v15
	v_pk_fma_f16 v15, v62, s6, v20 neg_lo:[0,0,1] neg_hi:[0,0,1]
	v_pk_fma_f16 v23, v64, s10, v22
	s_mov_b32 s16, 0x3964b836
	v_pk_add_f16 v14, v14, v15
	v_pk_fma_f16 v15, v63, s7, v21 neg_lo:[0,0,1] neg_hi:[0,0,1]
	v_pk_add_f16 v13, v13, v23
	s_mov_b32 s11, 0x39e9bacd
	v_pk_mul_f16 v23, v55, s16
	v_pk_add_f16 v14, v14, v15
	v_pk_fma_f16 v15, v64, s10, v22 neg_lo:[0,0,1] neg_hi:[0,0,1]
	v_pk_add_f16 v14, v14, v15
	v_pk_fma_f16 v15, v65, s11, v23 neg_lo:[0,0,1] neg_hi:[0,0,1]
	s_mov_b32 s1, 0xba62bbb2
	v_pk_add_f16 v18, v14, v15
	s_mov_b32 s0, 0xb8d2b461
	v_pk_mul_f16 v15, v56, s1
	s_mov_b32 s4, 0x3bb23836
	v_pk_fma_f16 v14, v57, s0, v15
	s_mov_b32 s1, 0xb461bacd
	v_pk_mul_f16 v19, v49, s4
	v_pk_add_f16 v14, v58, v14
	v_pk_fma_f16 v20, v59, s1, v19
	s_mov_b32 s5, 0xb5c83964
	v_pk_add_f16 v14, v14, v20
	s_mov_b32 s4, 0x3b7639e9
	v_pk_mul_f16 v20, v50, s5
	v_pk_fma_f16 v21, v60, s4, v20
	s_mov_b32 s6, 0xb836bb29
	v_pk_add_f16 v14, v14, v21
	s_mov_b32 s5, 0xbacd3722
	v_pk_mul_f16 v21, v51, s6
	;; [unrolled: 5-line block ×3, first 2 shown]
	v_pk_fma_f16 v15, v57, s0, v15 neg_lo:[0,0,1] neg_hi:[0,0,1]
	v_pk_fma_f16 v24, v65, s11, v23
	v_pk_fma_f16 v23, v62, s6, v22
	s_mov_b32 s10, 0xb9643bf7
	v_pk_add_f16 v15, v58, v15
	v_pk_fma_f16 v19, v59, s1, v19 neg_lo:[0,0,1] neg_hi:[0,0,1]
	v_pk_add_f16 v14, v14, v23
	s_mov_b32 s7, 0x39e92de8
	v_pk_mul_f16 v23, v53, s10
	v_pk_add_f16 v15, v15, v19
	v_pk_fma_f16 v19, v60, s4, v20 neg_lo:[0,0,1] neg_hi:[0,0,1]
	v_pk_add_f16 v13, v13, v24
	v_pk_fma_f16 v24, v63, s7, v23
	s_mov_b32 s11, 0xb1e1b5c8
	v_pk_add_f16 v15, v15, v19
	v_pk_fma_f16 v19, v61, s5, v21 neg_lo:[0,0,1] neg_hi:[0,0,1]
	v_pk_add_f16 v14, v14, v24
	s_mov_b32 s10, 0xbbdd3b76
	v_pk_mul_f16 v24, v54, s11
	v_pk_add_f16 v15, v15, v19
	v_pk_fma_f16 v19, v62, s6, v22 neg_lo:[0,0,1] neg_hi:[0,0,1]
	v_pk_fma_f16 v25, v64, s10, v24
	s_mov_b32 s16, 0x3b29ba62
	v_pk_add_f16 v15, v15, v19
	v_pk_fma_f16 v19, v63, s7, v23 neg_lo:[0,0,1] neg_hi:[0,0,1]
	v_pk_add_f16 v14, v14, v25
	s_mov_b32 s11, 0x3722b8d2
	v_pk_mul_f16 v25, v55, s16
	v_pk_add_f16 v15, v15, v19
	v_pk_fma_f16 v19, v64, s10, v24 neg_lo:[0,0,1] neg_hi:[0,0,1]
	v_pk_add_f16 v15, v15, v19
	v_pk_fma_f16 v19, v65, s11, v25 neg_lo:[0,0,1] neg_hi:[0,0,1]
	v_pk_add_f16 v19, v15, v19
	v_pk_add_f16 v15, v41, v33
	;; [unrolled: 1-line block ×12, first 2 shown]
	v_pk_mul_f16 v48, v48, s17 op_sel_hi:[0,1]
	v_pk_add_f16 v15, v15, v20
	v_pk_add_f16 v20, v47, v39
	v_pk_fma_f16 v26, v65, s11, v25
	v_pk_add_f16 v15, v15, v20
	v_pk_add_f16 v20, v48, v40
	;; [unrolled: 1-line block ×4, first 2 shown]
	v_lshl_add_u32 v20, v2, 5, v5
	ds_write_b16 v20, v16
	ds_write_b128 v20, v[12:15] offset:2
	v_alignbit_b32 v12, v4, v4, 16
	v_alignbit_b32 v13, v19, v19, 16
	;; [unrolled: 1-line block ×4, first 2 shown]
	ds_write_b128 v20, v[12:15] offset:18
.LBB0_15:
	s_or_b64 exec, exec, s[2:3]
	s_movk_i32 s0, 0xf1
	v_mul_lo_u16_sdwa v12, v2, s0 dst_sel:DWORD dst_unused:UNUSED_PAD src0_sel:BYTE_0 src1_sel:DWORD
	v_lshrrev_b16_e32 v38, 12, v12
	v_mul_lo_u16_e32 v12, 17, v38
	v_sub_u16_e32 v39, v2, v12
	v_mov_b32_e32 v12, 9
	v_mul_u32_u24_sdwa v12, v39, v12 dst_sel:DWORD dst_unused:UNUSED_PAD src0_sel:BYTE_0 src1_sel:DWORD
	v_lshlrev_b32_e32 v16, 2, v12
	s_waitcnt lgkmcnt(0)
	s_barrier
	global_load_dwordx4 v[12:15], v16, s[8:9]
	global_load_dwordx4 v[33:36], v16, s[8:9] offset:16
	global_load_dword v37, v16, s[8:9] offset:32
	ds_read_u16 v17, v5
	ds_read_u16 v16, v5 offset:374
	ds_read_u16 v19, v5 offset:748
	;; [unrolled: 1-line block ×9, first 2 shown]
	s_movk_i32 s10, 0x3b9c
	s_mov_b32 s5, 0xbb9c
	s_mov_b32 s4, 0xb8b4
	s_movk_i32 s6, 0x34f2
	s_movk_i32 s7, 0x38b4
	;; [unrolled: 1-line block ×3, first 2 shown]
	v_mul_u32_u24_e32 v38, 0x154, v38
	s_movk_i32 s0, 0xaa
	v_cmp_gt_u32_e64 s[0:1], s0, v2
	s_waitcnt vmcnt(0) lgkmcnt(0)
	s_barrier
	v_mul_f16_sdwa v18, v16, v12 dst_sel:DWORD dst_unused:UNUSED_PAD src0_sel:DWORD src1_sel:WORD_1
	v_mul_f16_sdwa v21, v32, v12 dst_sel:DWORD dst_unused:UNUSED_PAD src0_sel:DWORD src1_sel:WORD_1
	;; [unrolled: 1-line block ×12, first 2 shown]
	v_fma_f16 v32, v32, v12, -v18
	v_fma_f16 v18, v16, v12, v21
	v_fma_f16 v26, v31, v13, -v23
	v_fma_f16 v21, v19, v13, v27
	v_fma_f16 v12, v30, v14, -v28
	v_fma_f16 v27, v29, v15, -v44
	v_fma_f16 v28, v10, v34, -v48
	v_fma_f16 v29, v8, v36, -v52
	v_mul_f16_sdwa v46, v24, v33 dst_sel:DWORD dst_unused:UNUSED_PAD src0_sel:DWORD src1_sel:WORD_1
	v_mul_f16_sdwa v53, v8, v36 dst_sel:DWORD dst_unused:UNUSED_PAD src0_sel:DWORD src1_sel:WORD_1
	v_fma_f16 v19, v20, v14, v43
	v_fma_f16 v23, v22, v15, v45
	;; [unrolled: 1-line block ×4, first 2 shown]
	v_add_f16_e32 v13, v27, v28
	v_add_f16_e32 v31, v26, v29
	v_fma_f16 v11, v11, v33, -v46
	v_fma_f16 v25, v41, v36, v53
	v_add_f16_e32 v10, v6, v26
	v_sub_f16_e32 v15, v23, v24
	v_sub_f16_e32 v16, v26, v27
	;; [unrolled: 1-line block ×5, first 2 shown]
	v_fma_f16 v13, v13, -0.5, v6
	v_fma_f16 v6, v31, -0.5, v6
	v_mul_f16_sdwa v50, v40, v35 dst_sel:DWORD dst_unused:UNUSED_PAD src0_sel:DWORD src1_sel:WORD_1
	v_mul_f16_sdwa v51, v9, v35 dst_sel:DWORD dst_unused:UNUSED_PAD src0_sel:DWORD src1_sel:WORD_1
	v_sub_f16_e32 v14, v21, v25
	v_add_f16_e32 v16, v16, v30
	v_add_f16_e32 v30, v33, v34
	v_fma_f16 v33, v15, s5, v6
	v_fma_f16 v6, v15, s10, v6
	v_fma_f16 v9, v9, v35, -v50
	v_fma_f16 v22, v40, v35, v51
	v_add_f16_e32 v35, v32, v12
	v_add_f16_e32 v10, v10, v27
	v_fma_f16 v6, v14, s4, v6
	v_mul_f16_sdwa v54, v42, v37 dst_sel:DWORD dst_unused:UNUSED_PAD src0_sel:DWORD src1_sel:WORD_1
	v_add_f16_e32 v10, v10, v28
	v_fma_f16 v31, v14, s10, v13
	v_fma_f16 v13, v14, s5, v13
	;; [unrolled: 1-line block ×3, first 2 shown]
	v_add_f16_e32 v6, v35, v11
	v_mul_f16_sdwa v55, v7, v37 dst_sel:DWORD dst_unused:UNUSED_PAD src0_sel:DWORD src1_sel:WORD_1
	v_fma_f16 v8, v7, v37, -v54
	v_add_f16_e32 v40, v10, v29
	v_fma_f16 v10, v15, s7, v31
	v_fma_f16 v13, v15, s4, v13
	v_add_f16_e32 v6, v6, v9
	v_fma_f16 v7, v42, v37, v55
	v_fma_f16 v15, v14, s7, v33
	;; [unrolled: 1-line block ×4, first 2 shown]
	v_add_f16_e32 v13, v6, v8
	v_add_f16_e32 v6, v11, v9
	v_fma_f16 v6, v6, -0.5, v32
	v_sub_f16_e32 v10, v19, v7
	v_fma_f16 v15, v30, s6, v15
	v_fma_f16 v30, v10, s10, v6
	v_sub_f16_e32 v34, v20, v22
	v_sub_f16_e32 v31, v12, v11
	;; [unrolled: 1-line block ×3, first 2 shown]
	v_fma_f16 v6, v10, s5, v6
	v_fma_f16 v30, v34, s7, v30
	v_add_f16_e32 v33, v31, v33
	v_fma_f16 v6, v34, s4, v6
	v_fma_f16 v31, v33, s6, v30
	;; [unrolled: 1-line block ×3, first 2 shown]
	v_add_f16_e32 v6, v12, v8
	v_fma_f16 v6, v6, -0.5, v32
	v_fma_f16 v32, v34, s5, v6
	v_sub_f16_e32 v33, v11, v12
	v_sub_f16_e32 v35, v9, v8
	v_fma_f16 v6, v34, s10, v6
	v_fma_f16 v32, v10, s7, v32
	v_add_f16_e32 v35, v33, v35
	v_fma_f16 v6, v10, s4, v6
	v_fma_f16 v33, v35, s6, v32
	;; [unrolled: 1-line block ×3, first 2 shown]
	v_add_f16_e32 v6, v20, v22
	v_fma_f16 v6, v6, -0.5, v18
	v_sub_f16_e32 v8, v12, v8
	v_fma_f16 v10, v8, s5, v6
	v_sub_f16_e32 v9, v11, v9
	v_sub_f16_e32 v11, v19, v20
	;; [unrolled: 1-line block ×3, first 2 shown]
	v_fma_f16 v6, v8, s10, v6
	v_add_f16_e32 v11, v11, v12
	v_fma_f16 v6, v9, s7, v6
	v_fma_f16 v34, v11, s6, v6
	v_add_f16_e32 v6, v19, v7
	v_fma_f16 v10, v9, s4, v10
	v_fma_f16 v6, v6, -0.5, v18
	v_fma_f16 v35, v11, s6, v10
	v_fma_f16 v10, v9, s10, v6
	v_sub_f16_e32 v11, v20, v19
	v_sub_f16_e32 v12, v22, v7
	v_fma_f16 v6, v9, s5, v6
	v_fma_f16 v10, v8, s4, v10
	v_add_f16_e32 v11, v11, v12
	v_fma_f16 v6, v8, s7, v6
	v_fma_f16 v36, v11, s6, v10
	;; [unrolled: 1-line block ×3, first 2 shown]
	v_mul_f16_e32 v11, 0x3a79, v30
	v_add_f16_e32 v6, v40, v13
	v_mul_f16_e32 v8, 0x38b4, v35
	v_mul_f16_e32 v9, 0x3b9c, v36
	;; [unrolled: 1-line block ×3, first 2 shown]
	v_fma_f16 v45, v34, s7, -v11
	v_sub_f16_e32 v11, v40, v13
	v_mov_b32_e32 v40, 1
	v_fma_f16 v42, v31, s11, v8
	v_fma_f16 v43, v33, s6, v9
	v_fma_f16 v44, v37, s10, -v10
	v_lshlrev_b32_sdwa v39, v40, v39 dst_sel:DWORD dst_unused:UNUSED_PAD src0_sel:DWORD src1_sel:BYTE_0
	v_add_f16_e32 v8, v14, v42
	v_add_f16_e32 v9, v15, v43
	;; [unrolled: 1-line block ×4, first 2 shown]
	v_sub_f16_e32 v13, v14, v42
	v_sub_f16_e32 v14, v15, v43
	;; [unrolled: 1-line block ×4, first 2 shown]
	v_add3_u32 v38, 0, v38, v39
	ds_write_b16 v38, v6
	ds_write_b16 v38, v8 offset:34
	ds_write_b16 v38, v9 offset:68
	;; [unrolled: 1-line block ×9, first 2 shown]
	s_waitcnt lgkmcnt(0)
	s_barrier
	s_and_saveexec_b64 s[2:3], s[0:1]
	s_cbranch_execz .LBB0_17
; %bb.16:
	ds_read_u16 v6, v5
	ds_read_u16 v8, v5 offset:340
	ds_read_u16 v9, v5 offset:680
	;; [unrolled: 1-line block ×10, first 2 shown]
.LBB0_17:
	s_or_b64 exec, exec, s[2:3]
	v_add_f16_e32 v40, v23, v24
	v_fma_f16 v40, v40, -0.5, v17
	v_sub_f16_e32 v26, v26, v29
	v_fma_f16 v29, v26, s5, v40
	v_sub_f16_e32 v27, v27, v28
	v_fma_f16 v28, v27, s4, v29
	v_sub_f16_e32 v29, v21, v23
	v_sub_f16_e32 v41, v25, v24
	v_fma_f16 v40, v26, s10, v40
	v_add_f16_e32 v29, v29, v41
	v_fma_f16 v40, v27, s7, v40
	v_fma_f16 v28, v29, s6, v28
	v_fma_f16 v29, v29, s6, v40
	v_add_f16_e32 v40, v21, v25
	v_add_f16_e32 v39, v17, v21
	v_fma_f16 v17, v40, -0.5, v17
	v_add_f16_e32 v39, v39, v23
	v_fma_f16 v40, v27, s10, v17
	v_sub_f16_e32 v21, v23, v21
	v_sub_f16_e32 v23, v24, v25
	v_fma_f16 v17, v27, s5, v17
	v_add_f16_e32 v21, v21, v23
	v_fma_f16 v17, v26, s7, v17
	v_add_f16_e32 v39, v39, v24
	v_fma_f16 v24, v21, s6, v17
	v_add_f16_e32 v17, v18, v19
	v_mul_f16_e32 v19, 0xbb9c, v33
	v_add_f16_e32 v39, v39, v25
	v_add_f16_e32 v17, v17, v20
	v_fma_f16 v25, v36, s6, v19
	v_mul_f16_e32 v19, 0x34f2, v37
	v_fma_f16 v40, v26, s4, v40
	v_add_f16_e32 v17, v17, v22
	v_mul_f16_e32 v18, 0xb8b4, v31
	v_fma_f16 v26, v32, s5, -v19
	v_mul_f16_e32 v19, 0x3a79, v34
	v_fma_f16 v23, v21, s6, v40
	v_add_f16_e32 v17, v17, v7
	v_fma_f16 v18, v35, s11, v18
	v_fma_f16 v27, v30, s4, -v19
	v_add_f16_e32 v7, v39, v17
	v_add_f16_e32 v22, v28, v18
	;; [unrolled: 1-line block ×5, first 2 shown]
	v_sub_f16_e32 v17, v39, v17
	v_sub_f16_e32 v18, v28, v18
	;; [unrolled: 1-line block ×5, first 2 shown]
	s_waitcnt lgkmcnt(0)
	s_barrier
	ds_write_b16 v38, v7
	ds_write_b16 v38, v22 offset:34
	ds_write_b16 v38, v21 offset:68
	;; [unrolled: 1-line block ×9, first 2 shown]
	s_waitcnt lgkmcnt(0)
	s_barrier
	s_and_saveexec_b64 s[2:3], s[0:1]
	s_cbranch_execnz .LBB0_20
; %bb.18:
	s_or_b64 exec, exec, s[2:3]
	s_and_b64 s[0:1], vcc, s[0:1]
	s_and_saveexec_b64 s[2:3], s[0:1]
	s_cbranch_execnz .LBB0_21
.LBB0_19:
	s_endpgm
.LBB0_20:
	ds_read_u16 v7, v5
	ds_read_u16 v22, v5 offset:340
	ds_read_u16 v21, v5 offset:680
	;; [unrolled: 1-line block ×10, first 2 shown]
	s_or_b64 exec, exec, s[2:3]
	s_and_b64 s[0:1], vcc, s[0:1]
	s_and_saveexec_b64 s[2:3], s[0:1]
	s_cbranch_execz .LBB0_19
.LBB0_21:
	v_mul_u32_u24_e32 v5, 10, v2
	v_lshlrev_b32_e32 v5, 2, v5
	global_load_dwordx2 v[34:35], v5, s[8:9] offset:644
	global_load_dwordx4 v[26:29], v5, s[8:9] offset:612
	global_load_dwordx4 v[30:33], v5, s[8:9] offset:628
	s_movk_i32 s6, 0x3beb
	s_mov_b32 s5, 0xb482
	s_mov_b32 s7, 0xbb47
	s_movk_i32 s8, 0x3853
	s_movk_i32 s9, 0x3a0c
	s_mov_b32 s1, 0xb08e
	s_mov_b32 s0, 0xbbad
	s_movk_i32 s2, 0x36a6
	;; [unrolled: 4-line block ×3, first 2 shown]
	s_movk_i32 s16, 0x3b47
	s_mov_b32 s17, 0xb853
	s_mov_b32 s18, 0xba0c
	s_waitcnt vmcnt(2)
	v_lshrrev_b32_e32 v36, 16, v35
	s_waitcnt lgkmcnt(0)
	v_mul_f16_e32 v37, v4, v35
	s_waitcnt vmcnt(1)
	v_lshrrev_b32_e32 v38, 16, v26
	v_mul_f16_e32 v42, v22, v26
	v_lshrrev_b32_e32 v5, 16, v34
	v_lshrrev_b32_e32 v39, 16, v27
	v_mul_f16_e32 v43, v25, v34
	v_mul_f16_e32 v44, v21, v27
	s_waitcnt vmcnt(0)
	v_lshrrev_b32_e32 v45, 16, v30
	v_lshrrev_b32_e32 v46, 16, v31
	v_mul_f16_e32 v54, v17, v30
	v_fma_f16 v37, v3, v36, v37
	v_fma_f16 v42, v8, v38, v42
	v_mul_f16_e32 v22, v22, v38
	v_mul_f16_e32 v4, v4, v36
	v_lshrrev_b32_e32 v40, 16, v28
	v_lshrrev_b32_e32 v41, 16, v29
	;; [unrolled: 1-line block ×4, first 2 shown]
	v_mul_f16_e32 v49, v24, v33
	v_mul_f16_e32 v50, v20, v28
	;; [unrolled: 1-line block ×4, first 2 shown]
	v_fma_f16 v36, v16, v5, v43
	v_fma_f16 v38, v9, v39, v44
	v_mul_f16_e32 v21, v21, v39
	v_mul_f16_e32 v5, v25, v5
	v_fma_f16 v44, v11, v45, v54
	v_mul_f16_e32 v17, v17, v45
	v_mul_f16_e32 v18, v18, v46
	v_add_f16_e32 v45, v37, v42
	v_fma_f16 v8, v8, v26, -v22
	v_fma_f16 v3, v3, v35, -v4
	v_mul_f16_e32 v51, v23, v32
	v_fma_f16 v25, v15, v48, v49
	v_fma_f16 v39, v10, v40, v50
	v_mul_f16_e32 v20, v20, v40
	v_mul_f16_e32 v24, v24, v48
	v_fma_f16 v43, v12, v41, v52
	v_mul_f16_e32 v19, v19, v41
	v_mul_f16_e32 v23, v23, v47
	v_fma_f16 v41, v13, v46, v53
	v_add_f16_e32 v4, v36, v38
	v_fma_f16 v9, v9, v27, -v21
	v_fma_f16 v5, v16, v34, -v5
	;; [unrolled: 1-line block ×3, first 2 shown]
	v_mul_f16_e32 v18, 0xb08e, v45
	v_sub_f16_e32 v21, v8, v3
	v_fma_f16 v40, v14, v47, v51
	v_add_f16_e32 v16, v25, v39
	v_fma_f16 v10, v10, v28, -v20
	v_fma_f16 v15, v15, v33, -v24
	;; [unrolled: 1-line block ×3, first 2 shown]
	v_mul_f16_e32 v22, 0xbbad, v4
	v_sub_f16_e32 v23, v9, v5
	v_fma_f16 v32, v21, s6, v18
	v_add_f16_e32 v20, v40, v43
	v_fma_f16 v12, v12, v29, -v19
	v_mul_f16_e32 v24, 0x36a6, v16
	v_sub_f16_e32 v26, v10, v15
	v_fma_f16 v33, v23, s5, v22
	v_add_f16_e32 v32, v7, v32
	v_add_f16_e32 v19, v41, v44
	v_fma_f16 v11, v11, v30, -v17
	v_mul_f16_e32 v27, 0x3abb, v20
	v_sub_f16_e32 v28, v12, v14
	v_fma_f16 v34, v26, s7, v24
	v_add_f16_e32 v32, v32, v33
	v_mul_f16_e32 v29, 0xb93d, v19
	v_sub_f16_e32 v30, v11, v13
	v_fma_f16 v35, v28, s8, v27
	v_add_f16_e32 v32, v32, v34
	v_sub_f16_e32 v17, v42, v37
	v_fma_f16 v46, v30, s9, v29
	v_add_f16_e32 v32, v32, v35
	v_add_f16_e32 v31, v3, v8
	;; [unrolled: 1-line block ×3, first 2 shown]
	v_mul_f16_e32 v33, 0xbbeb, v17
	v_sub_f16_e32 v46, v38, v36
	v_fma_f16 v34, v31, s1, v33
	v_add_f16_e32 v35, v5, v9
	v_mul_f16_e32 v47, 0x3482, v46
	v_add_f16_e32 v34, v6, v34
	v_fma_f16 v48, v35, s0, v47
	v_sub_f16_e32 v49, v39, v25
	v_add_f16_e32 v34, v34, v48
	v_add_f16_e32 v48, v15, v10
	v_mul_f16_e32 v50, 0x3b47, v49
	v_fma_f16 v51, v48, s2, v50
	v_sub_f16_e32 v52, v43, v40
	v_add_f16_e32 v34, v34, v51
	v_add_f16_e32 v51, v14, v12
	v_mul_f16_e32 v53, 0xb853, v52
	;; [unrolled: 5-line block ×3, first 2 shown]
	v_fma_f16 v18, v21, s10, v18
	v_add_f16_e32 v8, v6, v8
	v_fma_f16 v57, v54, s4, v56
	v_add_f16_e32 v18, v7, v18
	;; [unrolled: 2-line block ×3, first 2 shown]
	v_add_f16_e32 v34, v34, v57
	v_mul_f16_e32 v57, 0xb93d, v45
	v_add_f16_e32 v18, v18, v22
	v_fma_f16 v22, v26, s16, v24
	v_add_f16_e32 v8, v8, v10
	v_fma_f16 v58, v21, s9, v57
	v_mul_f16_e32 v59, 0xb08e, v4
	v_add_f16_e32 v18, v18, v22
	v_fma_f16 v22, v28, s17, v27
	v_add_f16_e32 v8, v8, v12
	v_add_f16_e32 v58, v7, v58
	v_fma_f16 v60, v23, s10, v59
	v_add_f16_e32 v18, v18, v22
	v_fma_f16 v22, v30, s18, v29
	v_add_f16_e32 v8, v8, v11
	v_add_f16_e32 v58, v58, v60
	v_mul_f16_e32 v60, 0x3abb, v16
	v_add_f16_e32 v18, v18, v22
	v_fma_f16 v22, v31, s1, -v33
	v_add_f16_e32 v8, v13, v8
	v_fma_f16 v61, v26, s8, v60
	v_add_f16_e32 v22, v6, v22
	v_fma_f16 v24, v35, s0, -v47
	v_add_f16_e32 v8, v14, v8
	v_add_f16_e32 v58, v58, v61
	v_mul_f16_e32 v61, 0xbbad, v20
	v_add_f16_e32 v22, v22, v24
	v_fma_f16 v24, v48, s2, -v50
	v_add_f16_e32 v8, v15, v8
	v_fma_f16 v62, v28, s11, v61
	v_add_f16_e32 v22, v22, v24
	v_fma_f16 v24, v51, s3, -v53
	v_add_f16_e32 v5, v5, v8
	v_add_f16_e32 v58, v58, v62
	v_mul_f16_e32 v62, 0x36a6, v19
	v_add_f16_e32 v22, v22, v24
	v_fma_f16 v24, v54, s4, -v56
	v_add_f16_e32 v8, v3, v5
	v_add_f16_e32 v3, v7, v42
	v_fma_f16 v63, v30, s7, v62
	v_fma_f16 v57, v21, s18, v57
	v_add_f16_e32 v22, v22, v24
	v_mul_f16_e32 v24, 0xbb47, v21
	v_add_f16_e32 v3, v3, v38
	v_add_f16_e32 v58, v58, v63
	v_mul_f16_e32 v63, 0xba0c, v17
	v_add_f16_e32 v57, v7, v57
	v_fma_f16 v59, v23, s6, v59
	v_fma_f16 v27, v45, s2, v24
	v_mul_f16_e32 v29, 0xba0c, v23
	v_add_f16_e32 v3, v3, v39
	v_fma_f16 v64, v31, s4, v63
	v_mul_f16_e32 v65, 0x3beb, v46
	v_add_f16_e32 v57, v57, v59
	v_fma_f16 v59, v26, s17, v60
	v_add_f16_e32 v27, v7, v27
	v_fma_f16 v33, v4, s4, v29
	v_add_f16_e32 v3, v3, v43
	v_add_f16_e32 v64, v6, v64
	v_fma_f16 v66, v35, s1, v65
	v_add_f16_e32 v57, v57, v59
	v_fma_f16 v59, v28, s5, v61
	v_add_f16_e32 v27, v27, v33
	v_mul_f16_e32 v33, 0x3482, v26
	v_add_f16_e32 v3, v3, v44
	v_add_f16_e32 v64, v64, v66
	v_mul_f16_e32 v66, 0xb853, v49
	v_add_f16_e32 v57, v57, v59
	v_fma_f16 v59, v30, s16, v62
	v_fma_f16 v47, v16, s0, v33
	v_add_f16_e32 v3, v41, v3
	v_fma_f16 v67, v48, s3, v66
	v_add_f16_e32 v57, v57, v59
	v_fma_f16 v59, v31, s4, -v63
	v_add_f16_e32 v27, v27, v47
	v_mul_f16_e32 v47, 0x3beb, v28
	v_add_f16_e32 v3, v40, v3
	v_add_f16_e32 v64, v64, v67
	v_mul_f16_e32 v67, 0xb482, v52
	v_add_f16_e32 v59, v6, v59
	v_fma_f16 v60, v35, s1, -v65
	v_fma_f16 v50, v20, s1, v47
	v_add_f16_e32 v3, v25, v3
	v_fma_f16 v68, v51, s0, v67
	v_add_f16_e32 v59, v59, v60
	v_fma_f16 v60, v48, s3, -v66
	v_add_f16_e32 v27, v27, v50
	v_mul_f16_e32 v50, 0x3853, v30
	v_add_f16_e32 v3, v36, v3
	v_add_f16_e32 v64, v64, v68
	v_mul_f16_e32 v68, 0x3b47, v55
	v_add_f16_e32 v59, v59, v60
	v_fma_f16 v60, v51, s0, -v67
	v_fma_f16 v53, v19, s3, v50
	v_add_f16_e32 v9, v37, v3
	v_fma_f16 v3, v45, s2, -v24
	v_fma_f16 v69, v54, s2, v68
	v_add_f16_e32 v59, v59, v60
	v_fma_f16 v60, v54, s2, -v68
	v_add_f16_e32 v27, v27, v53
	v_mul_f16_e32 v53, 0xbb47, v17
	v_add_f16_e32 v3, v7, v3
	v_fma_f16 v5, v4, s4, -v29
	v_add_f16_e32 v64, v64, v69
	v_mul_f16_e32 v69, 0xbbad, v45
	v_add_f16_e32 v59, v59, v60
	v_fma_f16 v56, v31, s2, -v53
	v_mul_f16_e32 v60, 0xba0c, v46
	v_add_f16_e32 v3, v3, v5
	v_fma_f16 v5, v16, s0, -v33
	v_fma_f16 v70, v21, s11, v69
	v_mul_f16_e32 v71, 0x3abb, v4
	v_add_f16_e32 v56, v6, v56
	v_fma_f16 v61, v35, s4, -v60
	v_add_f16_e32 v3, v3, v5
	v_fma_f16 v5, v20, s1, -v47
	v_add_f16_e32 v70, v7, v70
	v_fma_f16 v72, v23, s17, v71
	v_add_f16_e32 v56, v56, v61
	v_mul_f16_e32 v61, 0x3482, v49
	v_add_f16_e32 v3, v3, v5
	v_fma_f16 v5, v19, s3, -v50
	v_add_f16_e32 v70, v70, v72
	v_mul_f16_e32 v72, 0xb93d, v16
	v_fma_f16 v62, v48, s0, -v61
	v_add_f16_e32 v10, v3, v5
	v_fma_f16 v3, v31, s2, v53
	v_fma_f16 v73, v26, s9, v72
	v_add_f16_e32 v56, v56, v62
	v_mul_f16_e32 v62, 0x3beb, v52
	v_add_f16_e32 v3, v6, v3
	v_fma_f16 v5, v35, s4, v60
	v_add_f16_e32 v70, v70, v73
	v_mul_f16_e32 v73, 0x36a6, v20
	v_fma_f16 v63, v51, s1, -v62
	v_add_f16_e32 v3, v3, v5
	v_fma_f16 v5, v48, s0, v61
	v_fma_f16 v74, v28, s7, v73
	v_add_f16_e32 v56, v56, v63
	v_mul_f16_e32 v63, 0x3853, v55
	v_add_f16_e32 v3, v3, v5
	v_fma_f16 v5, v51, s1, v62
	v_add_f16_e32 v70, v70, v74
	v_mul_f16_e32 v74, 0xb08e, v19
	v_fma_f16 v69, v21, s5, v69
	v_mul_f16_e32 v21, 0xb853, v21
	v_add_f16_e32 v3, v3, v5
	v_fma_f16 v5, v54, s3, v63
	v_fma_f16 v75, v30, s6, v74
	v_add_f16_e32 v69, v7, v69
	v_fma_f16 v71, v23, s8, v71
	v_mul_f16_e32 v23, 0xbb47, v23
	v_add_f16_e32 v11, v3, v5
	v_fma_f16 v3, v45, s3, -v21
	v_add_f16_e32 v70, v70, v75
	v_mul_f16_e32 v75, 0xb482, v17
	v_add_f16_e32 v69, v69, v71
	v_fma_f16 v71, v26, s18, v72
	v_fma_f16 v65, v54, s3, -v63
	v_fma_f16 v66, v4, s2, v23
	v_mul_f16_e32 v26, 0xbbeb, v26
	v_add_f16_e32 v3, v7, v3
	v_fma_f16 v4, v4, s2, -v23
	v_fma_f16 v76, v31, s0, v75
	v_mul_f16_e32 v77, 0x3853, v46
	v_add_f16_e32 v69, v69, v71
	v_fma_f16 v71, v28, s16, v73
	v_add_f16_e32 v56, v56, v65
	v_fma_f16 v65, v45, s3, v21
	v_mul_f16_e32 v28, 0xba0c, v28
	v_add_f16_e32 v3, v3, v4
	v_fma_f16 v4, v16, s1, -v26
	v_add_f16_e32 v76, v6, v76
	v_fma_f16 v78, v35, s3, v77
	v_add_f16_e32 v69, v69, v71
	v_fma_f16 v71, v30, s10, v74
	v_add_f16_e32 v65, v7, v65
	v_mul_f16_e32 v30, 0xb482, v30
	v_add_f16_e32 v3, v3, v4
	v_fma_f16 v4, v20, s4, -v28
	v_add_f16_e32 v76, v76, v78
	v_mul_f16_e32 v78, 0xba0c, v49
	v_add_f16_e32 v69, v69, v71
	v_fma_f16 v71, v31, s0, -v75
	v_add_f16_e32 v65, v65, v66
	v_fma_f16 v66, v16, s1, v26
	v_mul_f16_e32 v17, 0xb853, v17
	v_add_f16_e32 v3, v3, v4
	v_fma_f16 v4, v19, s0, -v30
	v_fma_f16 v79, v48, s4, v78
	v_add_f16_e32 v71, v6, v71
	v_fma_f16 v72, v35, s3, -v77
	v_add_f16_e32 v65, v65, v66
	v_fma_f16 v66, v20, s4, v28
	v_mul_f16_e32 v46, 0xbb47, v46
	v_add_f16_e32 v7, v3, v4
	v_fma_f16 v3, v31, s3, v17
	v_add_f16_e32 v76, v76, v79
	v_mul_f16_e32 v79, 0x3b47, v52
	v_add_f16_e32 v71, v71, v72
	v_fma_f16 v72, v48, s4, -v78
	v_add_f16_e32 v65, v65, v66
	v_fma_f16 v66, v19, s0, v30
	v_add_f16_e32 v3, v6, v3
	v_fma_f16 v4, v35, s2, v46
	v_fma_f16 v80, v51, s2, v79
	v_add_f16_e32 v71, v71, v72
	v_fma_f16 v72, v51, s2, -v79
	v_add_f16_e32 v65, v65, v66
	v_fma_f16 v66, v31, s3, -v17
	v_fma_f16 v67, v35, s2, -v46
	v_add_f16_e32 v5, v3, v4
	v_mad_u64_u32 v[3:4], s[2:3], s12, v2, 0
	v_mul_f16_e32 v49, 0xbbeb, v49
	v_add_f16_e32 v66, v6, v66
	v_mul_f16_e32 v52, 0xba0c, v52
	v_fma_f16 v6, v48, s1, v49
	v_add_f16_e32 v76, v76, v80
	v_mul_f16_e32 v80, 0xbbeb, v55
	v_mul_f16_e32 v55, 0xb482, v55
	v_add_f16_e32 v6, v5, v6
	v_fma_f16 v12, v51, s4, v52
	v_mad_u64_u32 v[4:5], s[2:3], s13, v2, v[4:5]
	v_add_f16_e32 v5, v6, v12
	v_fma_f16 v6, v54, s0, v55
	v_add_f16_e32 v66, v66, v67
	v_fma_f16 v67, v48, s1, -v49
	v_add_f16_e32 v12, v5, v6
	v_mov_b32_e32 v5, s15
	v_add_co_u32_e32 v13, vcc, s14, v0
	v_add_f16_e32 v66, v66, v67
	v_fma_f16 v67, v51, s4, -v52
	v_addc_co_u32_e32 v14, vcc, v5, v1, vcc
	v_add_u32_e32 v5, 0xaa, v2
	v_fma_f16 v81, v54, s1, v80
	v_add_f16_e32 v71, v71, v72
	v_fma_f16 v72, v54, s1, -v80
	v_add_f16_e32 v66, v66, v67
	v_fma_f16 v67, v54, s0, -v55
	v_lshlrev_b64 v[0:1], 2, v[3:4]
	v_mad_u64_u32 v[3:4], s[0:1], s12, v5, 0
	v_pack_b32_f16 v8, v8, v9
	v_add_u32_e32 v9, 0x154, v2
	v_mad_u64_u32 v[4:5], s[0:1], s13, v5, v[4:5]
	v_mad_u64_u32 v[5:6], s[0:1], s12, v9, 0
	v_add_co_u32_e32 v0, vcc, v13, v0
	v_addc_co_u32_e32 v1, vcc, v14, v1, vcc
	global_store_dword v[0:1], v8, off
	v_lshlrev_b64 v[0:1], 2, v[3:4]
	v_mov_b32_e32 v3, v6
	v_mad_u64_u32 v[3:4], s[0:1], s13, v9, v[3:4]
	v_add_f16_e32 v66, v66, v67
	v_add_co_u32_e32 v0, vcc, v13, v0
	v_addc_co_u32_e32 v1, vcc, v14, v1, vcc
	v_pack_b32_f16 v4, v66, v65
	v_mov_b32_e32 v6, v3
	global_store_dword v[0:1], v4, off
	v_lshlrev_b64 v[0:1], 2, v[5:6]
	v_add_u32_e32 v5, 0x1fe, v2
	v_mad_u64_u32 v[3:4], s[0:1], s12, v5, 0
	v_add_u32_e32 v9, 0x2a8, v2
	v_add_co_u32_e32 v0, vcc, v13, v0
	v_mad_u64_u32 v[4:5], s[0:1], s13, v5, v[4:5]
	v_mad_u64_u32 v[5:6], s[0:1], s12, v9, 0
	v_addc_co_u32_e32 v1, vcc, v14, v1, vcc
	v_pack_b32_f16 v8, v56, v27
	global_store_dword v[0:1], v8, off
	v_lshlrev_b64 v[0:1], 2, v[3:4]
	v_mov_b32_e32 v3, v6
	v_mad_u64_u32 v[3:4], s[0:1], s13, v9, v[3:4]
	v_add_co_u32_e32 v0, vcc, v13, v0
	v_addc_co_u32_e32 v1, vcc, v14, v1, vcc
	v_pack_b32_f16 v4, v22, v18
	v_mov_b32_e32 v6, v3
	global_store_dword v[0:1], v4, off
	v_lshlrev_b64 v[0:1], 2, v[5:6]
	v_add_u32_e32 v5, 0x352, v2
	v_mad_u64_u32 v[3:4], s[0:1], s12, v5, 0
	v_add_u32_e32 v9, 0x3fc, v2
	v_add_co_u32_e32 v0, vcc, v13, v0
	v_mad_u64_u32 v[4:5], s[0:1], s13, v5, v[4:5]
	v_mad_u64_u32 v[5:6], s[0:1], s12, v9, 0
	v_addc_co_u32_e32 v1, vcc, v14, v1, vcc
	v_pack_b32_f16 v8, v59, v57
	global_store_dword v[0:1], v8, off
	v_lshlrev_b64 v[0:1], 2, v[3:4]
	v_mov_b32_e32 v3, v6
	v_mad_u64_u32 v[3:4], s[0:1], s13, v9, v[3:4]
	v_add_f16_e32 v71, v71, v72
	v_add_co_u32_e32 v0, vcc, v13, v0
	v_addc_co_u32_e32 v1, vcc, v14, v1, vcc
	v_pack_b32_f16 v4, v71, v69
	v_mov_b32_e32 v6, v3
	global_store_dword v[0:1], v4, off
	v_lshlrev_b64 v[0:1], 2, v[5:6]
	v_add_u32_e32 v5, 0x4a6, v2
	v_mad_u64_u32 v[3:4], s[0:1], s12, v5, 0
	v_add_u32_e32 v9, 0x550, v2
	v_add_f16_e32 v76, v76, v81
	v_mad_u64_u32 v[4:5], s[0:1], s13, v5, v[4:5]
	v_mad_u64_u32 v[5:6], s[0:1], s12, v9, 0
	v_add_co_u32_e32 v0, vcc, v13, v0
	v_addc_co_u32_e32 v1, vcc, v14, v1, vcc
	v_pack_b32_f16 v8, v76, v70
	global_store_dword v[0:1], v8, off
	v_lshlrev_b64 v[0:1], 2, v[3:4]
	v_mov_b32_e32 v3, v6
	v_mad_u64_u32 v[3:4], s[0:1], s13, v9, v[3:4]
	v_add_co_u32_e32 v0, vcc, v13, v0
	v_addc_co_u32_e32 v1, vcc, v14, v1, vcc
	v_pack_b32_f16 v4, v64, v58
	v_mov_b32_e32 v6, v3
	global_store_dword v[0:1], v4, off
	v_lshlrev_b64 v[0:1], 2, v[5:6]
	v_add_u32_e32 v5, 0x5fa, v2
	v_mad_u64_u32 v[3:4], s[0:1], s12, v5, 0
	v_add_u32_e32 v9, 0x6a4, v2
	v_add_co_u32_e32 v0, vcc, v13, v0
	v_mad_u64_u32 v[4:5], s[0:1], s13, v5, v[4:5]
	v_mad_u64_u32 v[5:6], s[0:1], s12, v9, 0
	v_addc_co_u32_e32 v1, vcc, v14, v1, vcc
	v_pack_b32_f16 v8, v34, v32
	v_mov_b32_e32 v2, v6
	global_store_dword v[0:1], v8, off
	v_lshlrev_b64 v[0:1], 2, v[3:4]
	v_mad_u64_u32 v[2:3], s[0:1], s13, v9, v[2:3]
	v_add_co_u32_e32 v0, vcc, v13, v0
	v_addc_co_u32_e32 v1, vcc, v14, v1, vcc
	v_pack_b32_f16 v3, v11, v10
	v_mov_b32_e32 v6, v2
	global_store_dword v[0:1], v3, off
	v_lshlrev_b64 v[0:1], 2, v[5:6]
	v_pack_b32_f16 v2, v12, v7
	v_add_co_u32_e32 v0, vcc, v13, v0
	v_addc_co_u32_e32 v1, vcc, v14, v1, vcc
	global_store_dword v[0:1], v2, off
	s_endpgm
	.section	.rodata,"a",@progbits
	.p2align	6, 0x0
	.amdhsa_kernel fft_rtc_fwd_len1870_factors_17_10_11_wgs_187_tpt_187_halfLds_half_ip_CI_sbrr_dirReg
		.amdhsa_group_segment_fixed_size 0
		.amdhsa_private_segment_fixed_size 0
		.amdhsa_kernarg_size 88
		.amdhsa_user_sgpr_count 6
		.amdhsa_user_sgpr_private_segment_buffer 1
		.amdhsa_user_sgpr_dispatch_ptr 0
		.amdhsa_user_sgpr_queue_ptr 0
		.amdhsa_user_sgpr_kernarg_segment_ptr 1
		.amdhsa_user_sgpr_dispatch_id 0
		.amdhsa_user_sgpr_flat_scratch_init 0
		.amdhsa_user_sgpr_private_segment_size 0
		.amdhsa_uses_dynamic_stack 0
		.amdhsa_system_sgpr_private_segment_wavefront_offset 0
		.amdhsa_system_sgpr_workgroup_id_x 1
		.amdhsa_system_sgpr_workgroup_id_y 0
		.amdhsa_system_sgpr_workgroup_id_z 0
		.amdhsa_system_sgpr_workgroup_info 0
		.amdhsa_system_vgpr_workitem_id 0
		.amdhsa_next_free_vgpr 92
		.amdhsa_next_free_sgpr 41
		.amdhsa_reserve_vcc 1
		.amdhsa_reserve_flat_scratch 0
		.amdhsa_float_round_mode_32 0
		.amdhsa_float_round_mode_16_64 0
		.amdhsa_float_denorm_mode_32 3
		.amdhsa_float_denorm_mode_16_64 3
		.amdhsa_dx10_clamp 1
		.amdhsa_ieee_mode 1
		.amdhsa_fp16_overflow 0
		.amdhsa_exception_fp_ieee_invalid_op 0
		.amdhsa_exception_fp_denorm_src 0
		.amdhsa_exception_fp_ieee_div_zero 0
		.amdhsa_exception_fp_ieee_overflow 0
		.amdhsa_exception_fp_ieee_underflow 0
		.amdhsa_exception_fp_ieee_inexact 0
		.amdhsa_exception_int_div_zero 0
	.end_amdhsa_kernel
	.text
.Lfunc_end0:
	.size	fft_rtc_fwd_len1870_factors_17_10_11_wgs_187_tpt_187_halfLds_half_ip_CI_sbrr_dirReg, .Lfunc_end0-fft_rtc_fwd_len1870_factors_17_10_11_wgs_187_tpt_187_halfLds_half_ip_CI_sbrr_dirReg
                                        ; -- End function
	.section	.AMDGPU.csdata,"",@progbits
; Kernel info:
; codeLenInByte = 11640
; NumSgprs: 45
; NumVgprs: 92
; ScratchSize: 0
; MemoryBound: 0
; FloatMode: 240
; IeeeMode: 1
; LDSByteSize: 0 bytes/workgroup (compile time only)
; SGPRBlocks: 5
; VGPRBlocks: 22
; NumSGPRsForWavesPerEU: 45
; NumVGPRsForWavesPerEU: 92
; Occupancy: 2
; WaveLimiterHint : 1
; COMPUTE_PGM_RSRC2:SCRATCH_EN: 0
; COMPUTE_PGM_RSRC2:USER_SGPR: 6
; COMPUTE_PGM_RSRC2:TRAP_HANDLER: 0
; COMPUTE_PGM_RSRC2:TGID_X_EN: 1
; COMPUTE_PGM_RSRC2:TGID_Y_EN: 0
; COMPUTE_PGM_RSRC2:TGID_Z_EN: 0
; COMPUTE_PGM_RSRC2:TIDIG_COMP_CNT: 0
	.type	__hip_cuid_f48a03b32a1dbaa,@object ; @__hip_cuid_f48a03b32a1dbaa
	.section	.bss,"aw",@nobits
	.globl	__hip_cuid_f48a03b32a1dbaa
__hip_cuid_f48a03b32a1dbaa:
	.byte	0                               ; 0x0
	.size	__hip_cuid_f48a03b32a1dbaa, 1

	.ident	"AMD clang version 19.0.0git (https://github.com/RadeonOpenCompute/llvm-project roc-6.4.0 25133 c7fe45cf4b819c5991fe208aaa96edf142730f1d)"
	.section	".note.GNU-stack","",@progbits
	.addrsig
	.addrsig_sym __hip_cuid_f48a03b32a1dbaa
	.amdgpu_metadata
---
amdhsa.kernels:
  - .args:
      - .actual_access:  read_only
        .address_space:  global
        .offset:         0
        .size:           8
        .value_kind:     global_buffer
      - .offset:         8
        .size:           8
        .value_kind:     by_value
      - .actual_access:  read_only
        .address_space:  global
        .offset:         16
        .size:           8
        .value_kind:     global_buffer
      - .actual_access:  read_only
        .address_space:  global
        .offset:         24
        .size:           8
        .value_kind:     global_buffer
      - .offset:         32
        .size:           8
        .value_kind:     by_value
      - .actual_access:  read_only
        .address_space:  global
        .offset:         40
        .size:           8
        .value_kind:     global_buffer
      - .actual_access:  read_only
        .address_space:  global
        .offset:         48
        .size:           8
        .value_kind:     global_buffer
      - .offset:         56
        .size:           4
        .value_kind:     by_value
      - .actual_access:  read_only
        .address_space:  global
        .offset:         64
        .size:           8
        .value_kind:     global_buffer
      - .actual_access:  read_only
        .address_space:  global
        .offset:         72
        .size:           8
        .value_kind:     global_buffer
      - .address_space:  global
        .offset:         80
        .size:           8
        .value_kind:     global_buffer
    .group_segment_fixed_size: 0
    .kernarg_segment_align: 8
    .kernarg_segment_size: 88
    .language:       OpenCL C
    .language_version:
      - 2
      - 0
    .max_flat_workgroup_size: 187
    .name:           fft_rtc_fwd_len1870_factors_17_10_11_wgs_187_tpt_187_halfLds_half_ip_CI_sbrr_dirReg
    .private_segment_fixed_size: 0
    .sgpr_count:     45
    .sgpr_spill_count: 0
    .symbol:         fft_rtc_fwd_len1870_factors_17_10_11_wgs_187_tpt_187_halfLds_half_ip_CI_sbrr_dirReg.kd
    .uniform_work_group_size: 1
    .uses_dynamic_stack: false
    .vgpr_count:     92
    .vgpr_spill_count: 0
    .wavefront_size: 64
amdhsa.target:   amdgcn-amd-amdhsa--gfx906
amdhsa.version:
  - 1
  - 2
...

	.end_amdgpu_metadata
